;; amdgpu-corpus repo=ROCm/rocFFT kind=compiled arch=gfx906 opt=O3
	.text
	.amdgcn_target "amdgcn-amd-amdhsa--gfx906"
	.amdhsa_code_object_version 6
	.protected	fft_rtc_fwd_len1190_factors_17_2_5_7_wgs_255_tpt_85_halfLds_dp_ip_CI_unitstride_sbrr_C2R_dirReg ; -- Begin function fft_rtc_fwd_len1190_factors_17_2_5_7_wgs_255_tpt_85_halfLds_dp_ip_CI_unitstride_sbrr_C2R_dirReg
	.globl	fft_rtc_fwd_len1190_factors_17_2_5_7_wgs_255_tpt_85_halfLds_dp_ip_CI_unitstride_sbrr_C2R_dirReg
	.p2align	8
	.type	fft_rtc_fwd_len1190_factors_17_2_5_7_wgs_255_tpt_85_halfLds_dp_ip_CI_unitstride_sbrr_C2R_dirReg,@function
fft_rtc_fwd_len1190_factors_17_2_5_7_wgs_255_tpt_85_halfLds_dp_ip_CI_unitstride_sbrr_C2R_dirReg: ; @fft_rtc_fwd_len1190_factors_17_2_5_7_wgs_255_tpt_85_halfLds_dp_ip_CI_unitstride_sbrr_C2R_dirReg
; %bb.0:
	s_load_dwordx2 s[2:3], s[4:5], 0x50
	s_load_dwordx4 s[8:11], s[4:5], 0x0
	s_load_dwordx2 s[12:13], s[4:5], 0x18
	v_mul_u32_u24_e32 v1, 0x304, v0
	v_lshrrev_b32_e32 v1, 16, v1
	v_mad_u64_u32 v[1:2], s[0:1], s6, 3, v[1:2]
	v_mov_b32_e32 v5, 0
	s_waitcnt lgkmcnt(0)
	v_cmp_lt_u64_e64 s[0:1], s[10:11], 2
	v_mov_b32_e32 v2, v5
	v_mov_b32_e32 v3, 0
	;; [unrolled: 1-line block ×3, first 2 shown]
	s_and_b64 vcc, exec, s[0:1]
	v_mov_b32_e32 v4, 0
	v_mov_b32_e32 v9, v1
	s_cbranch_vccnz .LBB0_8
; %bb.1:
	s_load_dwordx2 s[0:1], s[4:5], 0x10
	s_add_u32 s6, s12, 8
	s_addc_u32 s7, s13, 0
	v_mov_b32_e32 v3, 0
	v_mov_b32_e32 v8, v2
	s_waitcnt lgkmcnt(0)
	s_add_u32 s16, s0, 8
	s_mov_b64 s[14:15], 1
	v_mov_b32_e32 v4, 0
	s_addc_u32 s17, s1, 0
	v_mov_b32_e32 v7, v1
.LBB0_2:                                ; =>This Inner Loop Header: Depth=1
	s_load_dwordx2 s[18:19], s[16:17], 0x0
                                        ; implicit-def: $vgpr9_vgpr10
	s_waitcnt lgkmcnt(0)
	v_or_b32_e32 v6, s19, v8
	v_cmp_ne_u64_e32 vcc, 0, v[5:6]
	s_and_saveexec_b64 s[0:1], vcc
	s_xor_b64 s[20:21], exec, s[0:1]
	s_cbranch_execz .LBB0_4
; %bb.3:                                ;   in Loop: Header=BB0_2 Depth=1
	v_cvt_f32_u32_e32 v2, s18
	v_cvt_f32_u32_e32 v6, s19
	s_sub_u32 s0, 0, s18
	s_subb_u32 s1, 0, s19
	v_mac_f32_e32 v2, 0x4f800000, v6
	v_rcp_f32_e32 v2, v2
	v_mul_f32_e32 v2, 0x5f7ffffc, v2
	v_mul_f32_e32 v6, 0x2f800000, v2
	v_trunc_f32_e32 v6, v6
	v_mac_f32_e32 v2, 0xcf800000, v6
	v_cvt_u32_f32_e32 v6, v6
	v_cvt_u32_f32_e32 v2, v2
	v_mul_lo_u32 v9, s0, v6
	v_mul_hi_u32 v10, s0, v2
	v_mul_lo_u32 v12, s1, v2
	v_mul_lo_u32 v11, s0, v2
	v_add_u32_e32 v9, v10, v9
	v_add_u32_e32 v9, v9, v12
	v_mul_hi_u32 v10, v2, v11
	v_mul_lo_u32 v12, v2, v9
	v_mul_hi_u32 v14, v2, v9
	v_mul_hi_u32 v13, v6, v11
	v_mul_lo_u32 v11, v6, v11
	v_mul_hi_u32 v15, v6, v9
	v_add_co_u32_e32 v10, vcc, v10, v12
	v_addc_co_u32_e32 v12, vcc, 0, v14, vcc
	v_mul_lo_u32 v9, v6, v9
	v_add_co_u32_e32 v10, vcc, v10, v11
	v_addc_co_u32_e32 v10, vcc, v12, v13, vcc
	v_addc_co_u32_e32 v11, vcc, 0, v15, vcc
	v_add_co_u32_e32 v9, vcc, v10, v9
	v_addc_co_u32_e32 v10, vcc, 0, v11, vcc
	v_add_co_u32_e32 v2, vcc, v2, v9
	v_addc_co_u32_e32 v6, vcc, v6, v10, vcc
	v_mul_lo_u32 v9, s0, v6
	v_mul_hi_u32 v10, s0, v2
	v_mul_lo_u32 v11, s1, v2
	v_mul_lo_u32 v12, s0, v2
	v_add_u32_e32 v9, v10, v9
	v_add_u32_e32 v9, v9, v11
	v_mul_lo_u32 v13, v2, v9
	v_mul_hi_u32 v14, v2, v12
	v_mul_hi_u32 v15, v2, v9
	;; [unrolled: 1-line block ×3, first 2 shown]
	v_mul_lo_u32 v12, v6, v12
	v_mul_hi_u32 v10, v6, v9
	v_add_co_u32_e32 v13, vcc, v14, v13
	v_addc_co_u32_e32 v14, vcc, 0, v15, vcc
	v_mul_lo_u32 v9, v6, v9
	v_add_co_u32_e32 v12, vcc, v13, v12
	v_addc_co_u32_e32 v11, vcc, v14, v11, vcc
	v_addc_co_u32_e32 v10, vcc, 0, v10, vcc
	v_add_co_u32_e32 v9, vcc, v11, v9
	v_addc_co_u32_e32 v10, vcc, 0, v10, vcc
	v_add_co_u32_e32 v2, vcc, v2, v9
	v_addc_co_u32_e32 v6, vcc, v6, v10, vcc
	v_mad_u64_u32 v[9:10], s[0:1], v7, v6, 0
	v_mul_hi_u32 v11, v7, v2
	v_add_co_u32_e32 v13, vcc, v11, v9
	v_addc_co_u32_e32 v14, vcc, 0, v10, vcc
	v_mad_u64_u32 v[9:10], s[0:1], v8, v2, 0
	v_mad_u64_u32 v[11:12], s[0:1], v8, v6, 0
	v_add_co_u32_e32 v2, vcc, v13, v9
	v_addc_co_u32_e32 v2, vcc, v14, v10, vcc
	v_addc_co_u32_e32 v6, vcc, 0, v12, vcc
	v_add_co_u32_e32 v2, vcc, v2, v11
	v_addc_co_u32_e32 v6, vcc, 0, v6, vcc
	v_mul_lo_u32 v11, s19, v2
	v_mul_lo_u32 v12, s18, v6
	v_mad_u64_u32 v[9:10], s[0:1], s18, v2, 0
	v_add3_u32 v10, v10, v12, v11
	v_sub_u32_e32 v11, v8, v10
	v_mov_b32_e32 v12, s19
	v_sub_co_u32_e32 v9, vcc, v7, v9
	v_subb_co_u32_e64 v11, s[0:1], v11, v12, vcc
	v_subrev_co_u32_e64 v12, s[0:1], s18, v9
	v_subbrev_co_u32_e64 v11, s[0:1], 0, v11, s[0:1]
	v_cmp_le_u32_e64 s[0:1], s19, v11
	v_cndmask_b32_e64 v13, 0, -1, s[0:1]
	v_cmp_le_u32_e64 s[0:1], s18, v12
	v_cndmask_b32_e64 v12, 0, -1, s[0:1]
	v_cmp_eq_u32_e64 s[0:1], s19, v11
	v_cndmask_b32_e64 v11, v13, v12, s[0:1]
	v_add_co_u32_e64 v12, s[0:1], 2, v2
	v_addc_co_u32_e64 v13, s[0:1], 0, v6, s[0:1]
	v_add_co_u32_e64 v14, s[0:1], 1, v2
	v_addc_co_u32_e64 v15, s[0:1], 0, v6, s[0:1]
	v_subb_co_u32_e32 v10, vcc, v8, v10, vcc
	v_cmp_ne_u32_e64 s[0:1], 0, v11
	v_cmp_le_u32_e32 vcc, s19, v10
	v_cndmask_b32_e64 v11, v15, v13, s[0:1]
	v_cndmask_b32_e64 v13, 0, -1, vcc
	v_cmp_le_u32_e32 vcc, s18, v9
	v_cndmask_b32_e64 v9, 0, -1, vcc
	v_cmp_eq_u32_e32 vcc, s19, v10
	v_cndmask_b32_e32 v9, v13, v9, vcc
	v_cmp_ne_u32_e32 vcc, 0, v9
	v_cndmask_b32_e32 v10, v6, v11, vcc
	v_cndmask_b32_e64 v6, v14, v12, s[0:1]
	v_cndmask_b32_e32 v9, v2, v6, vcc
.LBB0_4:                                ;   in Loop: Header=BB0_2 Depth=1
	s_andn2_saveexec_b64 s[0:1], s[20:21]
	s_cbranch_execz .LBB0_6
; %bb.5:                                ;   in Loop: Header=BB0_2 Depth=1
	v_cvt_f32_u32_e32 v2, s18
	s_sub_i32 s20, 0, s18
	v_rcp_iflag_f32_e32 v2, v2
	v_mul_f32_e32 v2, 0x4f7ffffe, v2
	v_cvt_u32_f32_e32 v2, v2
	v_mul_lo_u32 v6, s20, v2
	v_mul_hi_u32 v6, v2, v6
	v_add_u32_e32 v2, v2, v6
	v_mul_hi_u32 v2, v7, v2
	v_mul_lo_u32 v6, v2, s18
	v_add_u32_e32 v9, 1, v2
	v_sub_u32_e32 v6, v7, v6
	v_subrev_u32_e32 v10, s18, v6
	v_cmp_le_u32_e32 vcc, s18, v6
	v_cndmask_b32_e32 v6, v6, v10, vcc
	v_cndmask_b32_e32 v2, v2, v9, vcc
	v_add_u32_e32 v9, 1, v2
	v_cmp_le_u32_e32 vcc, s18, v6
	v_cndmask_b32_e32 v9, v2, v9, vcc
	v_mov_b32_e32 v10, v5
.LBB0_6:                                ;   in Loop: Header=BB0_2 Depth=1
	s_or_b64 exec, exec, s[0:1]
	v_mul_lo_u32 v2, v10, s18
	v_mul_lo_u32 v6, v9, s19
	v_mad_u64_u32 v[11:12], s[0:1], v9, s18, 0
	s_load_dwordx2 s[0:1], s[6:7], 0x0
	s_add_u32 s14, s14, 1
	v_add3_u32 v2, v12, v6, v2
	v_sub_co_u32_e32 v6, vcc, v7, v11
	v_subb_co_u32_e32 v2, vcc, v8, v2, vcc
	s_waitcnt lgkmcnt(0)
	v_mul_lo_u32 v2, s0, v2
	v_mul_lo_u32 v7, s1, v6
	v_mad_u64_u32 v[3:4], s[0:1], s0, v6, v[3:4]
	s_addc_u32 s15, s15, 0
	s_add_u32 s6, s6, 8
	v_add3_u32 v4, v7, v4, v2
	v_mov_b32_e32 v6, s10
	v_mov_b32_e32 v7, s11
	s_addc_u32 s7, s7, 0
	v_cmp_ge_u64_e32 vcc, s[14:15], v[6:7]
	s_add_u32 s16, s16, 8
	s_addc_u32 s17, s17, 0
	s_cbranch_vccnz .LBB0_8
; %bb.7:                                ;   in Loop: Header=BB0_2 Depth=1
	v_mov_b32_e32 v7, v9
	v_mov_b32_e32 v8, v10
	s_branch .LBB0_2
.LBB0_8:
	s_lshl_b64 s[0:1], s[10:11], 3
	s_add_u32 s0, s12, s0
	s_addc_u32 s1, s13, s1
	s_load_dwordx2 s[0:1], s[0:1], 0x0
	s_mov_b32 s6, 0xaaaaaaab
	v_mul_hi_u32 v5, v1, s6
	s_waitcnt lgkmcnt(0)
	v_mul_lo_u32 v6, s0, v10
	v_mul_lo_u32 v7, s1, v9
	v_mad_u64_u32 v[2:3], s[0:1], s0, v9, v[3:4]
	s_load_dwordx2 s[0:1], s[4:5], 0x20
	s_mov_b32 s4, 0x3030304
	v_lshrrev_b32_e32 v4, 1, v5
	v_mul_hi_u32 v5, v0, s4
	v_lshl_add_u32 v4, v4, 1, v4
	v_add3_u32 v3, v7, v3, v6
	v_sub_u32_e32 v1, v1, v4
	v_mul_u32_u24_e32 v11, 0x4a7, v1
	s_waitcnt lgkmcnt(0)
	v_cmp_gt_u64_e64 s[0:1], s[0:1], v[9:10]
	v_mul_u32_u24_e32 v1, 0x55, v5
	v_lshlrev_b64 v[102:103], 4, v[2:3]
	v_sub_u32_e32 v100, v0, v1
	v_lshlrev_b32_e32 v208, 4, v11
	s_and_saveexec_b64 s[4:5], s[0:1]
	s_cbranch_execz .LBB0_12
; %bb.9:
	v_mov_b32_e32 v101, 0
	v_mov_b32_e32 v0, s3
	v_add_co_u32_e32 v1, vcc, s2, v102
	v_lshlrev_b64 v[2:3], 4, v[100:101]
	v_addc_co_u32_e32 v0, vcc, v0, v103, vcc
	v_add_co_u32_e32 v36, vcc, v1, v2
	v_addc_co_u32_e32 v37, vcc, v0, v3, vcc
	s_movk_i32 s6, 0x1000
	v_add_co_u32_e32 v38, vcc, s6, v36
	v_addc_co_u32_e32 v39, vcc, 0, v37, vcc
	s_movk_i32 s6, 0x2000
	;; [unrolled: 3-line block ×3, first 2 shown]
	v_add_co_u32_e32 v62, vcc, s6, v36
	v_addc_co_u32_e32 v63, vcc, 0, v37, vcc
	v_add_co_u32_e32 v64, vcc, 0x4000, v36
	global_load_dwordx4 v[3:6], v[36:37], off
	global_load_dwordx4 v[7:10], v[36:37], off offset:1360
	global_load_dwordx4 v[12:15], v[36:37], off offset:2720
	;; [unrolled: 1-line block ×7, first 2 shown]
	v_addc_co_u32_e32 v65, vcc, 0, v37, vcc
	global_load_dwordx4 v[36:39], v[60:61], off offset:2688
	global_load_dwordx4 v[40:43], v[60:61], off offset:4048
	;; [unrolled: 1-line block ×6, first 2 shown]
	v_lshlrev_b32_e32 v2, 4, v100
	s_movk_i32 s6, 0x54
	v_add3_u32 v2, 0, v208, v2
	v_cmp_eq_u32_e32 vcc, s6, v100
	s_waitcnt vmcnt(13)
	ds_write_b128 v2, v[3:6]
	s_waitcnt vmcnt(12)
	ds_write_b128 v2, v[7:10] offset:1360
	s_waitcnt vmcnt(11)
	ds_write_b128 v2, v[12:15] offset:2720
	;; [unrolled: 2-line block ×13, first 2 shown]
	s_and_saveexec_b64 s[6:7], vcc
	s_cbranch_execz .LBB0_11
; %bb.10:
	v_add_co_u32_e32 v3, vcc, 0x4000, v1
	v_addc_co_u32_e32 v4, vcc, 0, v0, vcc
	global_load_dwordx4 v[3:6], v[3:4], off offset:2656
	v_mov_b32_e32 v100, 0x54
	s_waitcnt vmcnt(0)
	ds_write_b128 v2, v[3:6] offset:17696
.LBB0_11:
	s_or_b64 exec, exec, s[6:7]
.LBB0_12:
	s_or_b64 exec, exec, s[4:5]
	v_lshl_add_u32 v206, v11, 4, 0
	v_lshlrev_b32_e32 v0, 4, v100
	v_add_u32_e32 v207, v206, v0
	s_waitcnt lgkmcnt(0)
	s_barrier
	v_sub_u32_e32 v10, v206, v0
	ds_read_b64 v[6:7], v207
	ds_read_b64 v[8:9], v10 offset:19040
	s_add_u32 s6, s8, 0x4950
	s_addc_u32 s7, s9, 0
	v_cmp_ne_u32_e32 vcc, 0, v100
                                        ; implicit-def: $vgpr4_vgpr5
	s_waitcnt lgkmcnt(0)
	v_add_f64 v[0:1], v[6:7], v[8:9]
	v_add_f64 v[2:3], v[6:7], -v[8:9]
	s_and_saveexec_b64 s[4:5], vcc
	s_xor_b64 s[4:5], exec, s[4:5]
	s_cbranch_execz .LBB0_14
; %bb.13:
	v_mov_b32_e32 v101, 0
	v_lshlrev_b64 v[0:1], 4, v[100:101]
	v_mov_b32_e32 v2, s7
	v_add_co_u32_e32 v0, vcc, s6, v0
	v_addc_co_u32_e32 v1, vcc, v2, v1, vcc
	global_load_dwordx4 v[2:5], v[0:1], off
	ds_read_b64 v[0:1], v10 offset:19048
	ds_read_b64 v[12:13], v207 offset:8
	v_add_f64 v[14:15], v[6:7], v[8:9]
	v_add_f64 v[8:9], v[6:7], -v[8:9]
	s_waitcnt lgkmcnt(0)
	v_add_f64 v[16:17], v[0:1], v[12:13]
	v_add_f64 v[0:1], v[12:13], -v[0:1]
	s_waitcnt vmcnt(0)
	v_fma_f64 v[6:7], -v[8:9], v[4:5], v[14:15]
	v_fma_f64 v[12:13], v[16:17], v[4:5], -v[0:1]
	v_fma_f64 v[14:15], v[8:9], v[4:5], v[14:15]
	v_fma_f64 v[18:19], v[16:17], v[4:5], v[0:1]
	;; [unrolled: 1-line block ×4, first 2 shown]
	v_fma_f64 v[0:1], -v[16:17], v[2:3], v[14:15]
	v_fma_f64 v[2:3], v[8:9], v[2:3], v[18:19]
	ds_write_b128 v10, v[4:7] offset:19040
	v_mov_b32_e32 v4, v100
	v_mov_b32_e32 v5, v101
.LBB0_14:
	s_andn2_saveexec_b64 s[4:5], s[4:5]
	s_cbranch_execz .LBB0_16
; %bb.15:
	ds_read_b128 v[4:7], v206 offset:9520
	s_waitcnt lgkmcnt(0)
	v_add_f64 v[12:13], v[4:5], v[4:5]
	v_mul_f64 v[14:15], v[6:7], -2.0
	v_mov_b32_e32 v4, 0
	v_mov_b32_e32 v5, 0
	ds_write_b128 v206, v[12:15] offset:9520
.LBB0_16:
	s_or_b64 exec, exec, s[4:5]
	v_lshlrev_b64 v[4:5], 4, v[4:5]
	v_mov_b32_e32 v6, s7
	v_add_co_u32_e32 v24, vcc, s6, v4
	v_addc_co_u32_e32 v25, vcc, v6, v5, vcc
	global_load_dwordx4 v[4:7], v[24:25], off offset:1360
	global_load_dwordx4 v[12:15], v[24:25], off offset:2720
	ds_write_b128 v207, v[0:3]
	ds_read_b128 v[0:3], v207 offset:1360
	ds_read_b128 v[16:19], v10 offset:17680
	global_load_dwordx4 v[20:23], v[24:25], off offset:4080
	s_movk_i32 s4, 0x1000
	s_mov_b32 s12, 0x2b2883cd
	s_mov_b32 s10, 0x6c9a05f6
	s_waitcnt lgkmcnt(0)
	v_add_f64 v[8:9], v[0:1], v[16:17]
	v_add_f64 v[26:27], v[18:19], v[2:3]
	v_add_f64 v[16:17], v[0:1], -v[16:17]
	v_add_f64 v[0:1], v[2:3], -v[18:19]
	s_mov_b32 s13, 0x3fdc86fa
	s_mov_b32 s11, 0xbfe9895b
	s_mov_b32 s6, 0x6ed5f1bb
	s_mov_b32 s16, 0xacd6c6b4
	s_mov_b32 s7, 0xbfe348c8
	s_mov_b32 s17, 0x3fc7851a
	s_mov_b32 s14, 0x7faef3
	s_mov_b32 s20, 0x923c349f
	s_mov_b32 s15, 0xbfef7484
	s_mov_b32 s21, 0x3feec746
	s_mov_b32 s18, 0xc61f0d01
	s_mov_b32 s22, 0x2a9d6da3
	s_mov_b32 s19, 0xbfd183b1
	s_mov_b32 s23, 0x3fe58eea
	s_mov_b32 s24, 0x75d4884
	s_mov_b32 s28, 0x5d8e7cdc
	s_mov_b32 s25, 0x3fe7a5f6
	s_mov_b32 s29, 0xbfd71e95
	s_mov_b32 s26, 0x370991
	s_mov_b32 s34, 0xeb564b22
	s_mov_b32 s27, 0x3fedd6d0
	s_mov_b32 s35, 0xbfefdd0d
	s_mov_b32 s30, 0x3259b75e
	s_mov_b32 s36, 0x4363dd80
	s_mov_b32 s31, 0x3fb79ee6
	s_mov_b32 s37, 0xbfe0d888
	s_mov_b32 s40, 0x910ea3b9
	s_mov_b32 s41, 0xbfeb34fa
	s_movk_i32 s33, 0x46
	s_waitcnt vmcnt(2)
	v_fma_f64 v[2:3], v[16:17], v[6:7], v[8:9]
	v_fma_f64 v[18:19], v[26:27], v[6:7], v[0:1]
	v_fma_f64 v[8:9], -v[16:17], v[6:7], v[8:9]
	v_fma_f64 v[28:29], v[26:27], v[6:7], -v[0:1]
	v_fma_f64 v[0:1], -v[26:27], v[4:5], v[2:3]
	v_fma_f64 v[2:3], v[16:17], v[4:5], v[18:19]
	v_fma_f64 v[6:7], v[26:27], v[4:5], v[8:9]
	;; [unrolled: 1-line block ×3, first 2 shown]
	ds_write_b128 v207, v[0:3] offset:1360
	ds_write_b128 v10, v[6:9] offset:17680
	v_add_co_u32_e32 v8, vcc, s4, v24
	v_addc_co_u32_e32 v9, vcc, 0, v25, vcc
	ds_read_b128 v[0:3], v207 offset:2720
	ds_read_b128 v[4:7], v10 offset:16320
	global_load_dwordx4 v[16:19], v[8:9], off offset:1344
	s_mov_b32 s4, 0x7c9e640b
	s_mov_b32 s5, 0xbfeca52d
	v_cmp_gt_u32_e32 vcc, s33, v100
	s_waitcnt lgkmcnt(0)
	v_add_f64 v[24:25], v[0:1], v[4:5]
	v_add_f64 v[26:27], v[6:7], v[2:3]
	v_add_f64 v[28:29], v[0:1], -v[4:5]
	v_add_f64 v[0:1], v[2:3], -v[6:7]
	s_waitcnt vmcnt(2)
	v_fma_f64 v[2:3], v[28:29], v[14:15], v[24:25]
	v_fma_f64 v[4:5], v[26:27], v[14:15], v[0:1]
	v_fma_f64 v[6:7], -v[28:29], v[14:15], v[24:25]
	v_fma_f64 v[14:15], v[26:27], v[14:15], -v[0:1]
	v_fma_f64 v[0:1], -v[26:27], v[12:13], v[2:3]
	v_fma_f64 v[2:3], v[28:29], v[12:13], v[4:5]
	v_fma_f64 v[4:5], v[26:27], v[12:13], v[6:7]
	;; [unrolled: 1-line block ×3, first 2 shown]
	ds_write_b128 v207, v[0:3] offset:2720
	ds_write_b128 v10, v[4:7] offset:16320
	ds_read_b128 v[0:3], v207 offset:4080
	ds_read_b128 v[4:7], v10 offset:14960
	global_load_dwordx4 v[12:15], v[8:9], off offset:2704
	s_waitcnt lgkmcnt(0)
	v_add_f64 v[24:25], v[0:1], v[4:5]
	v_add_f64 v[26:27], v[6:7], v[2:3]
	v_add_f64 v[28:29], v[0:1], -v[4:5]
	v_add_f64 v[0:1], v[2:3], -v[6:7]
	s_waitcnt vmcnt(2)
	v_fma_f64 v[2:3], v[28:29], v[22:23], v[24:25]
	v_fma_f64 v[4:5], v[26:27], v[22:23], v[0:1]
	v_fma_f64 v[6:7], -v[28:29], v[22:23], v[24:25]
	v_fma_f64 v[22:23], v[26:27], v[22:23], -v[0:1]
	v_fma_f64 v[0:1], -v[26:27], v[20:21], v[2:3]
	v_fma_f64 v[2:3], v[28:29], v[20:21], v[4:5]
	v_fma_f64 v[4:5], v[26:27], v[20:21], v[6:7]
	;; [unrolled: 1-line block ×3, first 2 shown]
	ds_write_b128 v207, v[0:3] offset:4080
	ds_write_b128 v10, v[4:7] offset:14960
	ds_read_b128 v[0:3], v207 offset:5440
	ds_read_b128 v[4:7], v10 offset:13600
	global_load_dwordx4 v[20:23], v[8:9], off offset:4064
	s_waitcnt lgkmcnt(0)
	v_add_f64 v[8:9], v[0:1], v[4:5]
	v_add_f64 v[24:25], v[6:7], v[2:3]
	v_add_f64 v[26:27], v[0:1], -v[4:5]
	v_add_f64 v[0:1], v[2:3], -v[6:7]
	s_waitcnt vmcnt(2)
	v_fma_f64 v[2:3], v[26:27], v[18:19], v[8:9]
	v_fma_f64 v[4:5], v[24:25], v[18:19], v[0:1]
	v_fma_f64 v[6:7], -v[26:27], v[18:19], v[8:9]
	v_fma_f64 v[8:9], v[24:25], v[18:19], -v[0:1]
	v_fma_f64 v[0:1], -v[24:25], v[16:17], v[2:3]
	v_fma_f64 v[2:3], v[26:27], v[16:17], v[4:5]
	v_fma_f64 v[4:5], v[24:25], v[16:17], v[6:7]
	;; [unrolled: 1-line block ×3, first 2 shown]
	ds_write_b128 v207, v[0:3] offset:5440
	ds_write_b128 v10, v[4:7] offset:13600
	ds_read_b128 v[0:3], v207 offset:6800
	ds_read_b128 v[4:7], v10 offset:12240
	v_lshl_add_u32 v24, v100, 4, 0
	v_lshl_add_u32 v101, v11, 4, v24
	s_waitcnt lgkmcnt(0)
	v_add_f64 v[8:9], v[0:1], v[4:5]
	v_add_f64 v[16:17], v[6:7], v[2:3]
	v_add_f64 v[18:19], v[0:1], -v[4:5]
	v_add_f64 v[0:1], v[2:3], -v[6:7]
	s_waitcnt vmcnt(1)
	v_fma_f64 v[2:3], v[18:19], v[14:15], v[8:9]
	v_fma_f64 v[4:5], v[16:17], v[14:15], v[0:1]
	v_fma_f64 v[6:7], -v[18:19], v[14:15], v[8:9]
	v_fma_f64 v[8:9], v[16:17], v[14:15], -v[0:1]
	v_fma_f64 v[0:1], -v[16:17], v[12:13], v[2:3]
	v_fma_f64 v[2:3], v[18:19], v[12:13], v[4:5]
	v_fma_f64 v[4:5], v[16:17], v[12:13], v[6:7]
	;; [unrolled: 1-line block ×3, first 2 shown]
	ds_write_b128 v207, v[0:3] offset:6800
	ds_write_b128 v10, v[4:7] offset:12240
	ds_read_b128 v[0:3], v207 offset:8160
	ds_read_b128 v[4:7], v10 offset:10880
	s_waitcnt lgkmcnt(0)
	v_add_f64 v[8:9], v[0:1], v[4:5]
	v_add_f64 v[12:13], v[6:7], v[2:3]
	v_add_f64 v[14:15], v[0:1], -v[4:5]
	v_add_f64 v[0:1], v[2:3], -v[6:7]
	s_waitcnt vmcnt(0)
	v_fma_f64 v[2:3], v[14:15], v[22:23], v[8:9]
	v_fma_f64 v[4:5], v[12:13], v[22:23], v[0:1]
	v_fma_f64 v[6:7], -v[14:15], v[22:23], v[8:9]
	v_fma_f64 v[8:9], v[12:13], v[22:23], -v[0:1]
	v_fma_f64 v[0:1], -v[12:13], v[20:21], v[2:3]
	v_fma_f64 v[2:3], v[14:15], v[20:21], v[4:5]
	v_fma_f64 v[4:5], v[12:13], v[20:21], v[6:7]
	;; [unrolled: 1-line block ×3, first 2 shown]
	ds_write_b128 v207, v[0:3] offset:8160
	ds_write_b128 v10, v[4:7] offset:10880
	s_waitcnt lgkmcnt(0)
	s_barrier
	s_barrier
	ds_read_b128 v[4:7], v101 offset:17920
	ds_read_b128 v[68:71], v101 offset:1120
	ds_read_b128 v[28:31], v207
	ds_read_b128 v[64:67], v101 offset:2240
	ds_read_b128 v[60:63], v101 offset:3360
	;; [unrolled: 1-line block ×14, first 2 shown]
	s_waitcnt lgkmcnt(14)
	v_add_f64 v[136:137], v[70:71], -v[6:7]
	v_add_f64 v[128:129], v[68:69], -v[4:5]
	v_add_f64 v[120:121], v[68:69], v[4:5]
	s_waitcnt lgkmcnt(11)
	v_add_f64 v[130:131], v[66:67], -v[10:11]
	v_add_f64 v[166:167], v[70:71], v[6:7]
	v_add_f64 v[126:127], v[64:65], -v[8:9]
	v_add_f64 v[116:117], v[64:65], v[8:9]
	v_add_f64 v[164:165], v[66:67], v[10:11]
	v_mul_f64 v[180:181], v[136:137], s[4:5]
	v_mul_f64 v[198:199], v[128:129], s[4:5]
	s_waitcnt lgkmcnt(10)
	v_add_f64 v[132:133], v[62:63], -v[14:15]
	v_add_f64 v[122:123], v[60:61], -v[12:13]
	v_mul_f64 v[182:183], v[130:131], s[10:11]
	v_mul_f64 v[196:197], v[126:127], s[10:11]
	v_add_f64 v[110:111], v[60:61], v[12:13]
	v_add_f64 v[154:155], v[62:63], v[14:15]
	v_fma_f64 v[0:1], v[120:121], s[12:13], v[180:181]
	v_fma_f64 v[2:3], v[166:167], s[12:13], -v[198:199]
	s_waitcnt lgkmcnt(7)
	v_add_f64 v[140:141], v[58:59], -v[18:19]
	v_add_f64 v[118:119], v[56:57], -v[16:17]
	v_mul_f64 v[168:169], v[132:133], s[16:17]
	v_mul_f64 v[190:191], v[122:123], s[16:17]
	v_fma_f64 v[72:73], v[116:117], s[6:7], v[182:183]
	v_fma_f64 v[74:75], v[164:165], s[6:7], -v[196:197]
	v_add_f64 v[0:1], v[28:29], v[0:1]
	v_add_f64 v[2:3], v[30:31], v[2:3]
	v_add_f64 v[108:109], v[56:57], v[16:17]
	v_add_f64 v[152:153], v[58:59], v[18:19]
	s_waitcnt lgkmcnt(6)
	v_add_f64 v[144:145], v[54:55], -v[22:23]
	v_add_f64 v[112:113], v[52:53], -v[20:21]
	v_mul_f64 v[170:171], v[140:141], s[20:21]
	v_mul_f64 v[192:193], v[118:119], s[20:21]
	v_fma_f64 v[76:77], v[110:111], s[14:15], v[168:169]
	v_fma_f64 v[78:79], v[154:155], s[14:15], -v[190:191]
	v_add_f64 v[0:1], v[72:73], v[0:1]
	v_add_f64 v[2:3], v[74:75], v[2:3]
	v_add_f64 v[106:107], v[52:53], v[20:21]
	v_add_f64 v[150:151], v[54:55], v[22:23]
	;; [unrolled: 11-line block ×5, first 2 shown]
	v_mul_f64 v[176:177], v[158:159], s[36:37]
	v_mul_f64 v[188:189], v[138:139], s[36:37]
	v_fma_f64 v[76:77], v[114:115], s[30:31], v[178:179]
	v_fma_f64 v[78:79], v[160:161], s[30:31], -v[186:187]
	v_add_f64 v[0:1], v[72:73], v[0:1]
	v_add_f64 v[2:3], v[74:75], v[2:3]
	s_barrier
	v_fma_f64 v[72:73], v[142:143], s[40:41], v[176:177]
	v_fma_f64 v[74:75], v[162:163], s[40:41], -v[188:189]
	v_add_f64 v[0:1], v[76:77], v[0:1]
	v_add_f64 v[2:3], v[78:79], v[2:3]
	;; [unrolled: 1-line block ×4, first 2 shown]
	s_and_saveexec_b64 s[38:39], vcc
	s_cbranch_execz .LBB0_18
; %bb.17:
	v_mul_f64 v[72:73], v[166:167], s[14:15]
	v_mul_f64 v[78:79], v[164:165], s[26:27]
	s_mov_b32 s43, 0xbfc7851a
	s_mov_b32 s42, s16
	v_mul_f64 v[88:89], v[154:155], s[40:41]
	v_mul_f64 v[92:93], v[136:137], s[42:43]
	s_mov_b32 s49, 0x3fe0d888
	s_mov_b32 s48, s36
	v_fma_f64 v[84:85], v[128:129], s[16:17], v[72:73]
	v_fma_f64 v[90:91], v[126:127], s[28:29], v[78:79]
	s_mov_b32 s57, 0x3fd71e95
	s_mov_b32 s56, s28
	v_mul_f64 v[86:87], v[152:153], s[24:25]
	v_fma_f64 v[94:95], v[122:123], s[48:49], v[88:89]
	v_fma_f64 v[96:97], v[120:121], s[14:15], v[92:93]
	s_mov_b32 s45, 0xbfe58eea
	v_add_f64 v[84:85], v[30:31], v[84:85]
	s_mov_b32 s44, s22
	v_mul_f64 v[82:83], v[150:151], s[6:7]
	v_fma_f64 v[72:73], v[128:129], s[42:43], v[72:73]
	v_fma_f64 v[202:203], v[118:119], s[44:45], v[86:87]
	s_mov_b32 s47, 0x3fe9895b
	v_add_f64 v[96:97], v[28:29], v[96:97]
	s_mov_b32 s46, s10
	v_add_f64 v[84:85], v[90:91], v[84:85]
	v_mul_f64 v[90:91], v[130:131], s[56:57]
	v_mul_f64 v[80:81], v[156:157], s[12:13]
	;; [unrolled: 1-line block ×3, first 2 shown]
	v_fma_f64 v[211:212], v[112:113], s[46:47], v[82:83]
	v_fma_f64 v[92:93], v[120:121], s[14:15], -v[92:93]
	v_fma_f64 v[78:79], v[126:127], s[56:57], v[78:79]
	v_add_f64 v[72:73], v[30:31], v[72:73]
	v_add_f64 v[84:85], v[94:95], v[84:85]
	v_mul_f64 v[94:95], v[132:133], s[36:37]
	v_fma_f64 v[209:210], v[116:117], s[26:27], v[90:91]
	v_mul_f64 v[98:99], v[144:145], s[10:11]
	v_fma_f64 v[90:91], v[116:117], s[26:27], -v[90:91]
	v_add_f64 v[92:93], v[28:29], v[92:93]
	v_fma_f64 v[88:89], v[122:123], s[36:37], v[88:89]
	v_add_f64 v[72:73], v[78:79], v[72:73]
	v_add_f64 v[84:85], v[202:203], v[84:85]
	v_fma_f64 v[213:214], v[110:111], s[40:41], v[94:95]
	v_add_f64 v[96:97], v[209:210], v[96:97]
	v_fma_f64 v[209:210], v[124:125], s[4:5], v[80:81]
	s_mov_b32 s55, 0x3feca52d
	s_mov_b32 s54, s4
	v_mul_f64 v[74:75], v[160:161], s[18:19]
	v_mul_f64 v[202:203], v[146:147], s[54:55]
	v_add_f64 v[84:85], v[211:212], v[84:85]
	v_fma_f64 v[211:212], v[108:109], s[24:25], v[204:205]
	v_add_f64 v[96:97], v[213:214], v[96:97]
	v_fma_f64 v[94:95], v[110:111], s[40:41], -v[94:95]
	v_add_f64 v[90:91], v[90:91], v[92:93]
	v_fma_f64 v[86:87], v[118:119], s[22:23], v[86:87]
	v_add_f64 v[72:73], v[88:89], v[72:73]
	s_mov_b32 s51, 0xbfeec746
	v_add_f64 v[84:85], v[209:210], v[84:85]
	v_fma_f64 v[209:210], v[106:107], s[6:7], v[98:99]
	v_add_f64 v[92:93], v[211:212], v[96:97]
	s_mov_b32 s50, s20
	v_mul_f64 v[76:77], v[162:163], s[30:31]
	v_fma_f64 v[78:79], v[134:135], s[20:21], v[74:75]
	v_mul_f64 v[88:89], v[148:149], s[50:51]
	v_fma_f64 v[96:97], v[104:105], s[12:13], v[202:203]
	v_fma_f64 v[204:205], v[108:109], s[24:25], -v[204:205]
	v_add_f64 v[90:91], v[94:95], v[90:91]
	v_add_f64 v[92:93], v[209:210], v[92:93]
	v_fma_f64 v[82:83], v[112:113], s[10:11], v[82:83]
	v_add_f64 v[72:73], v[86:87], v[72:73]
	v_fma_f64 v[98:99], v[106:107], s[6:7], -v[98:99]
	v_fma_f64 v[94:95], v[114:115], s[18:19], v[88:89]
	v_add_f64 v[78:79], v[78:79], v[84:85]
	v_fma_f64 v[80:81], v[124:125], s[54:55], v[80:81]
	v_add_f64 v[90:91], v[204:205], v[90:91]
	v_add_f64 v[92:93], v[96:97], v[92:93]
	v_fma_f64 v[96:97], v[104:105], s[12:13], -v[202:203]
	v_add_f64 v[72:73], v[82:83], v[72:73]
	v_fma_f64 v[82:83], v[138:139], s[34:35], v[76:77]
	v_mul_f64 v[213:214], v[154:155], s[30:31]
	s_mov_b32 s53, 0x3fefdd0d
	s_mov_b32 s52, s34
	v_add_f64 v[90:91], v[98:99], v[90:91]
	v_add_f64 v[92:93], v[94:95], v[92:93]
	v_fma_f64 v[94:95], v[134:135], s[50:51], v[74:75]
	v_add_f64 v[80:81], v[80:81], v[72:73]
	v_add_f64 v[74:75], v[82:83], v[78:79]
	v_fma_f64 v[78:79], v[114:115], s[18:19], -v[88:89]
	v_mul_f64 v[88:89], v[166:167], s[40:41]
	v_mul_f64 v[217:218], v[130:131], s[54:55]
	v_add_f64 v[82:83], v[96:97], v[90:91]
	v_mul_f64 v[96:97], v[164:165], s[12:13]
	v_mul_f64 v[223:224], v[152:153], s[6:7]
	v_add_f64 v[80:81], v[94:95], v[80:81]
	v_mul_f64 v[94:95], v[136:137], s[36:37]
	v_fma_f64 v[225:226], v[122:123], s[52:53], v[213:214]
	v_fma_f64 v[209:210], v[128:129], s[48:49], v[88:89]
	;; [unrolled: 1-line block ×3, first 2 shown]
	v_mul_f64 v[86:87], v[158:159], s[52:53]
	v_fma_f64 v[221:222], v[126:127], s[4:5], v[96:97]
	v_fma_f64 v[96:97], v[126:127], s[54:55], v[96:97]
	v_add_f64 v[78:79], v[78:79], v[82:83]
	v_fma_f64 v[219:220], v[120:121], s[40:41], v[94:95]
	v_fma_f64 v[94:95], v[120:121], s[40:41], -v[94:95]
	v_add_f64 v[209:210], v[30:31], v[209:210]
	v_add_f64 v[88:89], v[30:31], v[88:89]
	v_mul_f64 v[82:83], v[150:151], s[26:27]
	v_mul_f64 v[227:228], v[132:133], s[34:35]
	v_fma_f64 v[229:230], v[116:117], s[12:13], v[217:218]
	v_fma_f64 v[213:214], v[122:123], s[34:35], v[213:214]
	v_fma_f64 v[217:218], v[116:117], s[12:13], -v[217:218]
	v_add_f64 v[94:95], v[28:29], v[94:95]
	v_add_f64 v[209:210], v[221:222], v[209:210]
	v_fma_f64 v[221:222], v[118:119], s[10:11], v[223:224]
	v_add_f64 v[88:89], v[96:97], v[88:89]
	v_fma_f64 v[84:85], v[142:143], s[30:31], v[86:87]
	v_mul_f64 v[90:91], v[156:157], s[14:15]
	v_fma_f64 v[215:216], v[112:113], s[56:57], v[82:83]
	v_mul_f64 v[231:232], v[140:141], s[46:47]
	v_fma_f64 v[223:224], v[118:119], s[46:47], v[223:224]
	v_add_f64 v[96:97], v[225:226], v[209:210]
	v_add_f64 v[94:95], v[217:218], v[94:95]
	;; [unrolled: 1-line block ×4, first 2 shown]
	v_fma_f64 v[84:85], v[142:143], s[30:31], -v[86:87]
	v_mul_f64 v[86:87], v[160:161], s[24:25]
	v_fma_f64 v[211:212], v[124:125], s[16:17], v[90:91]
	v_add_f64 v[219:220], v[28:29], v[219:220]
	v_add_f64 v[96:97], v[221:222], v[96:97]
	v_fma_f64 v[221:222], v[110:111], s[30:31], -v[227:228]
	v_mul_f64 v[209:210], v[144:145], s[28:29]
	v_fma_f64 v[82:83], v[112:113], s[28:29], v[82:83]
	v_add_f64 v[88:89], v[223:224], v[88:89]
	v_fma_f64 v[223:224], v[108:109], s[6:7], -v[231:232]
	v_fma_f64 v[98:99], v[134:135], s[44:45], v[86:87]
	v_fma_f64 v[233:234], v[110:111], s[30:31], v[227:228]
	v_add_f64 v[96:97], v[215:216], v[96:97]
	v_add_f64 v[94:95], v[221:222], v[94:95]
	;; [unrolled: 1-line block ×3, first 2 shown]
	v_mul_f64 v[213:214], v[146:147], s[42:43]
	v_fma_f64 v[217:218], v[106:107], s[26:27], v[209:210]
	v_fma_f64 v[90:91], v[124:125], s[42:43], v[90:91]
	v_add_f64 v[82:83], v[82:83], v[88:89]
	v_fma_f64 v[209:210], v[106:107], s[26:27], -v[209:210]
	v_add_f64 v[88:89], v[211:212], v[96:97]
	v_add_f64 v[94:95], v[223:224], v[94:95]
	v_fma_f64 v[76:77], v[138:139], s[52:53], v[76:77]
	v_mul_f64 v[92:93], v[162:163], s[18:19]
	v_fma_f64 v[225:226], v[108:109], s[6:7], v[231:232]
	v_add_f64 v[219:220], v[233:234], v[219:220]
	v_mul_f64 v[215:216], v[148:149], s[22:23]
	v_fma_f64 v[86:87], v[134:135], s[22:23], v[86:87]
	v_add_f64 v[82:83], v[90:91], v[82:83]
	v_add_f64 v[88:89], v[98:99], v[88:89]
	v_fma_f64 v[98:99], v[104:105], s[14:15], -v[213:214]
	v_add_f64 v[94:95], v[209:210], v[94:95]
	v_fma_f64 v[90:91], v[138:139], s[20:21], v[92:93]
	v_add_f64 v[219:220], v[225:226], v[219:220]
	v_fma_f64 v[221:222], v[104:105], s[14:15], v[213:214]
	v_mul_f64 v[96:97], v[158:159], s[50:51]
	v_add_f64 v[86:87], v[86:87], v[82:83]
	v_add_f64 v[82:83], v[76:77], v[80:81]
	;; [unrolled: 1-line block ×3, first 2 shown]
	v_fma_f64 v[84:85], v[114:115], s[24:25], -v[215:216]
	v_add_f64 v[94:95], v[98:99], v[94:95]
	v_add_f64 v[217:218], v[217:218], v[219:220]
	v_add_f64 v[78:79], v[90:91], v[88:89]
	v_mul_f64 v[88:89], v[166:167], s[6:7]
	v_fma_f64 v[211:212], v[114:115], s[24:25], v[215:216]
	v_fma_f64 v[209:210], v[142:143], s[18:19], v[96:97]
	v_fma_f64 v[90:91], v[142:143], s[18:19], -v[96:97]
	v_mul_f64 v[96:97], v[164:165], s[18:19]
	v_add_f64 v[84:85], v[84:85], v[94:95]
	v_mul_f64 v[94:95], v[136:137], s[10:11]
	v_add_f64 v[217:218], v[221:222], v[217:218]
	v_fma_f64 v[98:99], v[128:129], s[46:47], v[88:89]
	v_mul_f64 v[219:220], v[130:131], s[20:21]
	v_mul_f64 v[213:214], v[154:155], s[26:27]
	;; [unrolled: 1-line block ×3, first 2 shown]
	v_fma_f64 v[88:89], v[128:129], s[10:11], v[88:89]
	v_mul_f64 v[225:226], v[152:153], s[40:41]
	v_fma_f64 v[221:222], v[120:121], s[6:7], v[94:95]
	v_add_f64 v[211:212], v[211:212], v[217:218]
	v_fma_f64 v[217:218], v[126:127], s[50:51], v[96:97]
	v_add_f64 v[98:99], v[30:31], v[98:99]
	v_fma_f64 v[231:232], v[116:117], s[18:19], v[219:220]
	v_fma_f64 v[227:228], v[122:123], s[56:57], v[213:214]
	v_mul_f64 v[235:236], v[140:141], s[36:37]
	v_fma_f64 v[96:97], v[126:127], s[20:21], v[96:97]
	v_add_f64 v[221:222], v[28:29], v[221:222]
	v_add_f64 v[88:89], v[30:31], v[88:89]
	v_fma_f64 v[237:238], v[110:111], s[26:27], v[229:230]
	v_add_f64 v[98:99], v[217:218], v[98:99]
	v_mul_f64 v[217:218], v[150:151], s[30:31]
	v_fma_f64 v[233:234], v[118:119], s[48:49], v[225:226]
	v_fma_f64 v[213:214], v[122:123], s[28:29], v[213:214]
	v_fma_f64 v[94:95], v[120:121], s[6:7], -v[94:95]
	v_add_f64 v[221:222], v[231:232], v[221:222]
	v_mul_f64 v[231:232], v[144:145], s[52:53]
	v_add_f64 v[88:89], v[96:97], v[88:89]
	v_add_f64 v[98:99], v[227:228], v[98:99]
	v_fma_f64 v[96:97], v[108:109], s[40:41], v[235:236]
	v_fma_f64 v[92:93], v[138:139], s[50:51], v[92:93]
	v_add_f64 v[76:77], v[209:210], v[211:212]
	v_mul_f64 v[209:210], v[156:157], s[24:25]
	v_add_f64 v[221:222], v[237:238], v[221:222]
	v_fma_f64 v[227:228], v[112:113], s[34:35], v[217:218]
	v_fma_f64 v[225:226], v[118:119], s[36:37], v[225:226]
	v_add_f64 v[98:99], v[233:234], v[98:99]
	v_mul_f64 v[233:234], v[146:147], s[44:45]
	v_fma_f64 v[219:220], v[116:117], s[18:19], -v[219:220]
	v_add_f64 v[94:95], v[28:29], v[94:95]
	v_add_f64 v[88:89], v[213:214], v[88:89]
	v_fma_f64 v[213:214], v[106:107], s[30:31], v[231:232]
	v_add_f64 v[96:97], v[96:97], v[221:222]
	v_add_f64 v[86:87], v[92:93], v[86:87]
	v_mul_f64 v[92:93], v[160:161], s[14:15]
	v_fma_f64 v[223:224], v[124:125], s[22:23], v[209:210]
	v_add_f64 v[98:99], v[227:228], v[98:99]
	v_mul_f64 v[221:222], v[148:149], s[42:43]
	v_fma_f64 v[217:218], v[112:113], s[52:53], v[217:218]
	v_fma_f64 v[227:228], v[110:111], s[26:27], -v[229:230]
	v_add_f64 v[94:95], v[219:220], v[94:95]
	v_add_f64 v[88:89], v[225:226], v[88:89]
	v_fma_f64 v[219:220], v[104:105], s[24:25], v[233:234]
	v_add_f64 v[96:97], v[213:214], v[96:97]
	v_fma_f64 v[215:216], v[134:135], s[16:17], v[92:93]
	v_add_f64 v[98:99], v[223:224], v[98:99]
	v_mul_f64 v[213:214], v[158:159], s[54:55]
	v_fma_f64 v[209:210], v[124:125], s[44:45], v[209:210]
	v_fma_f64 v[223:224], v[108:109], s[40:41], -v[235:236]
	v_add_f64 v[94:95], v[227:228], v[94:95]
	v_add_f64 v[88:89], v[217:218], v[88:89]
	v_fma_f64 v[217:218], v[114:115], s[14:15], v[221:222]
	v_add_f64 v[96:97], v[219:220], v[96:97]
	v_mul_f64 v[211:212], v[162:163], s[12:13]
	v_add_f64 v[98:99], v[215:216], v[98:99]
	v_fma_f64 v[92:93], v[134:135], s[42:43], v[92:93]
	v_fma_f64 v[215:216], v[106:107], s[30:31], -v[231:232]
	v_add_f64 v[94:95], v[223:224], v[94:95]
	v_add_f64 v[88:89], v[209:210], v[88:89]
	v_fma_f64 v[209:210], v[142:143], s[12:13], v[213:214]
	v_add_f64 v[96:97], v[217:218], v[96:97]
	v_fma_f64 v[219:220], v[138:139], s[4:5], v[211:212]
	v_fma_f64 v[211:212], v[138:139], s[54:55], v[211:212]
	v_mul_f64 v[217:218], v[166:167], s[18:19]
	v_fma_f64 v[223:224], v[104:105], s[24:25], -v[233:234]
	v_add_f64 v[94:95], v[215:216], v[94:95]
	v_add_f64 v[92:93], v[92:93], v[88:89]
	;; [unrolled: 1-line block ×4, first 2 shown]
	v_mul_f64 v[96:97], v[136:137], s[50:51]
	v_add_f64 v[90:91], v[219:220], v[98:99]
	v_mul_f64 v[98:99], v[164:165], s[40:41]
	v_fma_f64 v[209:210], v[128:129], s[20:21], v[217:218]
	v_fma_f64 v[215:216], v[114:115], s[14:15], -v[221:222]
	v_add_f64 v[219:220], v[223:224], v[94:95]
	v_add_f64 v[94:95], v[211:212], v[92:93]
	v_mul_f64 v[211:212], v[130:131], s[48:49]
	v_fma_f64 v[221:222], v[120:121], s[18:19], v[96:97]
	v_mul_f64 v[92:93], v[154:155], s[24:25]
	v_fma_f64 v[223:224], v[126:127], s[36:37], v[98:99]
	v_add_f64 v[209:210], v[30:31], v[209:210]
	v_mul_f64 v[225:226], v[132:133], s[22:23]
	v_add_f64 v[215:216], v[215:216], v[219:220]
	v_mul_f64 v[219:220], v[152:153], s[12:13]
	v_fma_f64 v[227:228], v[116:117], s[40:41], v[211:212]
	v_add_f64 v[221:222], v[28:29], v[221:222]
	v_fma_f64 v[229:230], v[122:123], s[44:45], v[92:93]
	v_mul_f64 v[235:236], v[140:141], s[4:5]
	v_add_f64 v[209:210], v[223:224], v[209:210]
	v_fma_f64 v[237:238], v[110:111], s[24:25], v[225:226]
	v_mul_f64 v[233:234], v[150:151], s[14:15]
	v_fma_f64 v[217:218], v[128:129], s[50:51], v[217:218]
	v_mul_f64 v[239:240], v[156:157], s[30:31]
	v_add_f64 v[221:222], v[227:228], v[221:222]
	v_fma_f64 v[227:228], v[118:119], s[54:55], v[219:220]
	v_fma_f64 v[243:244], v[108:109], s[12:13], v[235:236]
	v_add_f64 v[209:210], v[229:230], v[209:210]
	v_fma_f64 v[98:99], v[126:127], s[48:49], v[98:99]
	v_fma_f64 v[241:242], v[112:113], s[16:17], v[233:234]
	v_add_f64 v[217:218], v[30:31], v[217:218]
	v_fma_f64 v[96:97], v[120:121], s[18:19], -v[96:97]
	v_add_f64 v[221:222], v[237:238], v[221:222]
	v_mul_f64 v[237:238], v[144:145], s[42:43]
	v_mul_f64 v[223:224], v[160:161], s[26:27]
	v_add_f64 v[209:210], v[227:228], v[209:210]
	v_mul_f64 v[227:228], v[146:147], s[52:53]
	v_fma_f64 v[245:246], v[124:125], s[34:35], v[239:240]
	v_add_f64 v[98:99], v[98:99], v[217:218]
	v_fma_f64 v[211:212], v[116:117], s[40:41], -v[211:212]
	v_add_f64 v[221:222], v[243:244], v[221:222]
	v_fma_f64 v[243:244], v[106:107], s[14:15], v[237:238]
	v_add_f64 v[96:97], v[28:29], v[96:97]
	v_add_f64 v[209:210], v[241:242], v[209:210]
	v_mul_f64 v[241:242], v[148:149], s[28:29]
	v_fma_f64 v[217:218], v[104:105], s[30:31], v[227:228]
	v_fma_f64 v[92:93], v[122:123], s[22:23], v[92:93]
	v_fma_f64 v[213:214], v[142:143], s[12:13], -v[213:214]
	v_mul_f64 v[231:232], v[162:163], s[6:7]
	v_add_f64 v[221:222], v[243:244], v[221:222]
	v_fma_f64 v[229:230], v[134:135], s[56:57], v[223:224]
	v_add_f64 v[209:210], v[245:246], v[209:210]
	v_mul_f64 v[243:244], v[158:159], s[10:11]
	v_fma_f64 v[245:246], v[114:115], s[26:27], v[241:242]
	v_fma_f64 v[219:220], v[118:119], s[4:5], v[219:220]
	v_fma_f64 v[225:226], v[110:111], s[24:25], -v[225:226]
	v_add_f64 v[96:97], v[211:212], v[96:97]
	v_add_f64 v[92:93], v[92:93], v[98:99]
	;; [unrolled: 1-line block ×3, first 2 shown]
	v_fma_f64 v[211:212], v[138:139], s[46:47], v[231:232]
	v_add_f64 v[209:210], v[229:230], v[209:210]
	v_fma_f64 v[217:218], v[142:143], s[6:7], v[243:244]
	v_fma_f64 v[221:222], v[112:113], s[42:43], v[233:234]
	v_fma_f64 v[229:230], v[108:109], s[12:13], -v[235:236]
	v_add_f64 v[96:97], v[225:226], v[96:97]
	v_add_f64 v[219:220], v[219:220], v[92:93]
	;; [unrolled: 1-line block ×4, first 2 shown]
	v_mul_f64 v[213:214], v[166:167], s[30:31]
	v_add_f64 v[98:99], v[211:212], v[209:210]
	v_fma_f64 v[209:210], v[124:125], s[52:53], v[239:240]
	v_fma_f64 v[211:212], v[106:107], s[14:15], -v[237:238]
	v_add_f64 v[215:216], v[229:230], v[96:97]
	v_add_f64 v[219:220], v[221:222], v[219:220]
	;; [unrolled: 1-line block ×3, first 2 shown]
	v_mul_f64 v[217:218], v[164:165], s[14:15]
	v_fma_f64 v[221:222], v[128:129], s[52:53], v[213:214]
	v_fma_f64 v[225:226], v[104:105], s[30:31], -v[227:228]
	v_mul_f64 v[227:228], v[136:137], s[34:35]
	v_fma_f64 v[223:224], v[134:135], s[28:29], v[223:224]
	v_add_f64 v[211:212], v[211:212], v[215:216]
	v_add_f64 v[209:210], v[209:210], v[219:220]
	v_mul_f64 v[215:216], v[154:155], s[18:19]
	v_fma_f64 v[219:220], v[126:127], s[16:17], v[217:218]
	v_add_f64 v[221:222], v[30:31], v[221:222]
	v_mul_f64 v[233:234], v[130:131], s[42:43]
	v_fma_f64 v[235:236], v[120:121], s[30:31], v[227:228]
	v_fma_f64 v[213:214], v[128:129], s[34:35], v[213:214]
	v_fma_f64 v[229:230], v[114:115], s[26:27], -v[241:242]
	v_add_f64 v[211:212], v[225:226], v[211:212]
	v_add_f64 v[209:210], v[223:224], v[209:210]
	v_mul_f64 v[223:224], v[152:153], s[26:27]
	v_fma_f64 v[225:226], v[122:123], s[50:51], v[215:216]
	v_add_f64 v[219:220], v[219:220], v[221:222]
	v_mul_f64 v[221:222], v[132:133], s[20:21]
	v_fma_f64 v[237:238], v[116:117], s[14:15], v[233:234]
	v_add_f64 v[235:236], v[28:29], v[235:236]
	v_fma_f64 v[217:218], v[126:127], s[42:43], v[217:218]
	v_add_f64 v[213:214], v[30:31], v[213:214]
	v_fma_f64 v[227:228], v[120:121], s[30:31], -v[227:228]
	v_add_f64 v[211:212], v[229:230], v[211:212]
	v_mul_f64 v[229:230], v[150:151], s[12:13]
	v_fma_f64 v[239:240], v[118:119], s[28:29], v[223:224]
	v_add_f64 v[219:220], v[225:226], v[219:220]
	v_mul_f64 v[225:226], v[140:141], s[56:57]
	v_fma_f64 v[241:242], v[110:111], s[18:19], v[221:222]
	v_add_f64 v[235:236], v[237:238], v[235:236]
	v_fma_f64 v[215:216], v[122:123], s[20:21], v[215:216]
	v_add_f64 v[213:214], v[217:218], v[213:214]
	v_fma_f64 v[233:234], v[116:117], s[14:15], -v[233:234]
	v_add_f64 v[227:228], v[28:29], v[227:228]
	v_fma_f64 v[245:246], v[112:113], s[54:55], v[229:230]
	v_add_f64 v[219:220], v[239:240], v[219:220]
	v_fma_f64 v[247:248], v[108:109], s[26:27], v[225:226]
	v_add_f64 v[235:236], v[241:242], v[235:236]
	v_mul_f64 v[241:242], v[144:145], s[4:5]
	v_fma_f64 v[223:224], v[118:119], s[56:57], v[223:224]
	v_add_f64 v[213:214], v[215:216], v[213:214]
	v_add_f64 v[227:228], v[233:234], v[227:228]
	v_fma_f64 v[221:222], v[110:111], s[18:19], -v[221:222]
	v_mul_f64 v[204:205], v[166:167], s[12:13]
	v_mul_f64 v[237:238], v[156:157], s[40:41]
	v_add_f64 v[219:220], v[245:246], v[219:220]
	v_mul_f64 v[245:246], v[146:147], s[36:37]
	v_add_f64 v[235:236], v[247:248], v[235:236]
	v_fma_f64 v[247:248], v[106:107], s[12:13], v[241:242]
	v_add_f64 v[213:214], v[223:224], v[213:214]
	v_fma_f64 v[229:230], v[112:113], s[4:5], v[229:230]
	v_fma_f64 v[225:226], v[108:109], s[26:27], -v[225:226]
	v_add_f64 v[221:222], v[221:222], v[227:228]
	v_mul_f64 v[239:240], v[160:161], s[6:7]
	v_fma_f64 v[217:218], v[124:125], s[48:49], v[237:238]
	v_mul_f64 v[223:224], v[164:165], s[6:7]
	v_add_f64 v[235:236], v[247:248], v[235:236]
	v_fma_f64 v[247:248], v[104:105], s[40:41], v[245:246]
	v_add_f64 v[213:214], v[229:230], v[213:214]
	v_fma_f64 v[237:238], v[124:125], s[36:37], v[237:238]
	v_add_f64 v[198:199], v[198:199], v[204:205]
	v_fma_f64 v[204:205], v[106:107], s[12:13], -v[241:242]
	v_add_f64 v[221:222], v[225:226], v[221:222]
	v_fma_f64 v[215:216], v[134:135], s[10:11], v[239:240]
	v_add_f64 v[217:218], v[217:218], v[219:220]
	v_mul_f64 v[219:220], v[148:149], s[46:47]
	v_add_f64 v[235:236], v[247:248], v[235:236]
	v_mul_f64 v[247:248], v[154:155], s[14:15]
	v_add_f64 v[213:214], v[237:238], v[213:214]
	v_fma_f64 v[231:232], v[138:139], s[10:11], v[231:232]
	v_fma_f64 v[241:242], v[142:143], s[6:7], -v[243:244]
	v_add_f64 v[223:224], v[196:197], v[223:224]
	v_add_f64 v[204:205], v[204:205], v[221:222]
	v_mul_f64 v[221:222], v[162:163], s[24:25]
	v_add_f64 v[251:252], v[30:31], v[198:199]
	v_fma_f64 v[239:240], v[134:135], s[46:47], v[239:240]
	v_add_f64 v[215:216], v[215:216], v[217:218]
	v_fma_f64 v[217:218], v[114:115], s[6:7], v[219:220]
	v_mul_f64 v[227:228], v[152:153], s[18:19]
	v_add_f64 v[198:199], v[231:232], v[209:210]
	v_add_f64 v[196:197], v[241:242], v[211:212]
	v_mul_f64 v[209:210], v[158:159], s[22:23]
	v_add_f64 v[190:191], v[190:191], v[247:248]
	v_add_f64 v[223:224], v[223:224], v[251:252]
	v_fma_f64 v[241:242], v[138:139], s[44:45], v[221:222]
	v_fma_f64 v[245:246], v[104:105], s[40:41], -v[245:246]
	v_add_f64 v[213:214], v[239:240], v[213:214]
	v_fma_f64 v[221:222], v[138:139], s[22:23], v[221:222]
	v_mul_f64 v[200:201], v[120:121], s[12:13]
	v_add_f64 v[217:218], v[217:218], v[235:236]
	v_mul_f64 v[249:250], v[150:151], s[24:25]
	v_fma_f64 v[239:240], v[142:143], s[24:25], v[209:210]
	v_add_f64 v[227:228], v[192:193], v[227:228]
	v_add_f64 v[223:224], v[190:191], v[223:224]
	v_fma_f64 v[219:220], v[114:115], s[6:7], -v[219:220]
	v_add_f64 v[245:246], v[245:246], v[204:205]
	v_add_f64 v[204:205], v[221:222], v[213:214]
	v_mul_f64 v[213:214], v[166:167], s[24:25]
	v_mul_f64 v[202:203], v[116:117], s[6:7]
	;; [unrolled: 1-line block ×4, first 2 shown]
	v_add_f64 v[192:193], v[241:242], v[215:216]
	v_add_f64 v[190:191], v[239:240], v[217:218]
	;; [unrolled: 1-line block ×5, first 2 shown]
	v_add_f64 v[180:181], v[200:201], -v[180:181]
	v_mul_f64 v[200:201], v[164:165], s[30:31]
	v_fma_f64 v[219:220], v[128:129], s[22:23], v[213:214]
	v_mul_f64 v[233:234], v[110:111], s[14:15]
	v_add_f64 v[184:185], v[184:185], v[237:238]
	v_add_f64 v[186:187], v[186:187], v[211:212]
	;; [unrolled: 1-line block ×3, first 2 shown]
	v_add_f64 v[182:183], v[202:203], -v[182:183]
	v_mul_f64 v[211:212], v[136:137], s[44:45]
	v_add_f64 v[180:181], v[28:29], v[180:181]
	v_mul_f64 v[215:216], v[154:155], s[6:7]
	v_fma_f64 v[202:203], v[126:127], s[52:53], v[200:201]
	v_add_f64 v[219:220], v[30:31], v[219:220]
	v_add_f64 v[70:71], v[30:31], v[70:71]
	;; [unrolled: 1-line block ×3, first 2 shown]
	v_mul_f64 v[229:230], v[108:109], s[18:19]
	v_add_f64 v[184:185], v[184:185], v[194:195]
	v_add_f64 v[168:169], v[233:234], -v[168:169]
	v_mul_f64 v[194:195], v[130:131], s[34:35]
	v_fma_f64 v[221:222], v[120:121], s[24:25], v[211:212]
	v_add_f64 v[180:181], v[182:183], v[180:181]
	v_mul_f64 v[182:183], v[152:153], s[14:15]
	v_fma_f64 v[223:224], v[122:123], s[46:47], v[215:216]
	v_add_f64 v[202:203], v[202:203], v[219:220]
	v_add_f64 v[66:67], v[70:71], v[66:67]
	v_add_f64 v[64:65], v[68:69], v[64:65]
	v_mul_f64 v[235:236], v[106:107], s[24:25]
	v_add_f64 v[170:171], v[229:230], -v[170:171]
	v_mul_f64 v[219:220], v[132:133], s[10:11]
	v_fma_f64 v[227:228], v[116:117], s[30:31], v[194:195]
	v_add_f64 v[221:222], v[28:29], v[221:222]
	v_add_f64 v[168:169], v[168:169], v[180:181]
	v_mul_f64 v[180:181], v[150:151], s[40:41]
	v_fma_f64 v[229:230], v[118:119], s[16:17], v[182:183]
	v_add_f64 v[202:203], v[223:224], v[202:203]
	v_add_f64 v[62:63], v[66:67], v[62:63]
	v_add_f64 v[60:61], v[64:65], v[60:61]
	v_mul_f64 v[225:226], v[104:105], s[26:27]
	v_add_f64 v[172:173], v[235:236], -v[172:173]
	v_mul_f64 v[223:224], v[140:141], s[42:43]
	v_fma_f64 v[233:234], v[110:111], s[6:7], v[219:220]
	v_add_f64 v[221:222], v[227:228], v[221:222]
	;; [unrolled: 11-line block ×4, first 2 shown]
	v_add_f64 v[168:169], v[174:175], v[168:169]
	v_mul_f64 v[229:230], v[162:163], s[26:27]
	v_fma_f64 v[174:175], v[134:135], s[4:5], v[172:173]
	v_add_f64 v[170:171], v[233:234], v[170:171]
	v_add_f64 v[50:51], v[54:55], v[50:51]
	;; [unrolled: 1-line block ×3, first 2 shown]
	v_fma_f64 v[209:210], v[142:143], s[24:25], -v[209:210]
	v_fma_f64 v[233:234], v[104:105], s[18:19], v[235:236]
	v_add_f64 v[202:203], v[202:203], v[221:222]
	v_add_f64 v[176:177], v[231:232], -v[176:177]
	v_add_f64 v[168:169], v[178:179], v[168:169]
	v_fma_f64 v[178:179], v[138:139], s[28:29], v[229:230]
	v_add_f64 v[174:175], v[174:175], v[170:171]
	v_fma_f64 v[213:214], v[128:129], s[44:45], v[213:214]
	v_add_f64 v[46:47], v[50:51], v[46:47]
	v_add_f64 v[44:45], v[48:49], v[44:45]
	;; [unrolled: 1-line block ×5, first 2 shown]
	v_fma_f64 v[176:177], v[126:127], s[34:35], v[200:201]
	v_add_f64 v[174:175], v[178:179], v[174:175]
	v_add_f64 v[178:179], v[30:31], v[213:214]
	v_fma_f64 v[209:210], v[120:121], s[24:25], -v[211:212]
	v_mul_f64 v[166:167], v[166:167], s[26:27]
	v_mul_f64 v[48:49], v[136:137], s[28:29]
	v_add_f64 v[42:43], v[46:47], v[42:43]
	v_add_f64 v[40:41], v[44:45], v[40:41]
	v_fma_f64 v[211:212], v[122:123], s[10:11], v[215:216]
	v_fma_f64 v[194:195], v[116:117], s[30:31], -v[194:195]
	v_add_f64 v[176:177], v[176:177], v[178:179]
	v_add_f64 v[209:210], v[28:29], v[209:210]
	v_mul_f64 v[164:165], v[164:165], s[24:25]
	v_fma_f64 v[213:214], v[128:129], s[56:57], v[166:167]
	v_fma_f64 v[128:129], v[128:129], s[28:29], v[166:167]
	v_mul_f64 v[130:131], v[130:131], s[44:45]
	v_fma_f64 v[44:45], v[120:121], s[26:27], -v[48:49]
	v_fma_f64 v[48:49], v[120:121], s[26:27], v[48:49]
	v_add_f64 v[38:39], v[42:43], v[38:39]
	v_add_f64 v[36:37], v[40:41], v[36:37]
	v_fma_f64 v[182:183], v[118:119], s[42:43], v[182:183]
	v_add_f64 v[176:177], v[211:212], v[176:177]
	v_fma_f64 v[211:212], v[110:111], s[6:7], -v[219:220]
	v_add_f64 v[194:195], v[194:195], v[209:210]
	v_mul_f64 v[154:155], v[154:155], s[12:13]
	v_fma_f64 v[209:210], v[126:127], s[22:23], v[164:165]
	v_add_f64 v[213:214], v[30:31], v[213:214]
	v_mul_f64 v[46:47], v[132:133], s[4:5]
	v_fma_f64 v[120:121], v[126:127], s[44:45], v[164:165]
	v_add_f64 v[30:31], v[30:31], v[128:129]
	v_fma_f64 v[126:127], v[116:117], s[24:25], -v[130:131]
	v_add_f64 v[40:41], v[28:29], v[44:45]
	v_fma_f64 v[42:43], v[116:117], s[24:25], v[130:131]
	v_add_f64 v[28:29], v[28:29], v[48:49]
	v_add_f64 v[34:35], v[38:39], v[34:35]
	;; [unrolled: 1-line block ×3, first 2 shown]
	v_fma_f64 v[180:181], v[112:113], s[48:49], v[180:181]
	v_add_f64 v[176:177], v[182:183], v[176:177]
	v_fma_f64 v[182:183], v[108:109], s[14:15], -v[223:224]
	v_add_f64 v[68:69], v[211:212], v[194:195]
	v_mul_f64 v[70:71], v[152:153], s[30:31]
	v_mul_f64 v[140:141], v[140:141], s[34:35]
	v_fma_f64 v[44:45], v[122:123], s[4:5], v[154:155]
	v_add_f64 v[30:31], v[120:121], v[30:31]
	v_fma_f64 v[48:49], v[110:111], s[12:13], -v[46:47]
	v_add_f64 v[36:37], v[126:127], v[40:41]
	v_fma_f64 v[152:153], v[122:123], s[54:55], v[154:155]
	v_add_f64 v[194:195], v[209:210], v[213:214]
	v_fma_f64 v[38:39], v[110:111], s[12:13], v[46:47]
	v_add_f64 v[28:29], v[42:43], v[28:29]
	v_add_f64 v[26:27], v[34:35], v[26:27]
	;; [unrolled: 1-line block ×3, first 2 shown]
	v_fma_f64 v[178:179], v[124:125], s[20:21], v[227:228]
	v_add_f64 v[176:177], v[180:181], v[176:177]
	v_fma_f64 v[180:181], v[106:107], s[40:41], -v[225:226]
	v_add_f64 v[64:65], v[182:183], v[68:69]
	v_mul_f64 v[66:67], v[150:151], s[18:19]
	v_mul_f64 v[136:137], v[144:145], s[50:51]
	v_fma_f64 v[40:41], v[118:119], s[34:35], v[70:71]
	v_add_f64 v[30:31], v[44:45], v[30:31]
	v_fma_f64 v[42:43], v[108:109], s[30:31], -v[140:141]
	v_add_f64 v[32:33], v[48:49], v[36:37]
	v_fma_f64 v[68:69], v[118:119], s[52:53], v[70:71]
	v_add_f64 v[150:151], v[152:153], v[194:195]
	v_fma_f64 v[34:35], v[108:109], s[30:31], v[140:141]
	v_add_f64 v[28:29], v[38:39], v[28:29]
	v_add_f64 v[22:23], v[26:27], v[22:23]
	;; [unrolled: 1-line block ×3, first 2 shown]
	v_fma_f64 v[172:173], v[134:135], s[54:55], v[172:173]
	v_add_f64 v[152:153], v[178:179], v[176:177]
	v_fma_f64 v[176:177], v[104:105], s[18:19], -v[235:236]
	v_add_f64 v[60:61], v[180:181], v[64:65]
	v_mul_f64 v[62:63], v[156:157], s[6:7]
	v_mul_f64 v[50:51], v[146:147], s[10:11]
	v_fma_f64 v[36:37], v[112:113], s[50:51], v[66:67]
	v_add_f64 v[30:31], v[40:41], v[30:31]
	v_fma_f64 v[38:39], v[106:107], s[18:19], -v[136:137]
	v_add_f64 v[24:25], v[42:43], v[32:33]
	v_add_f64 v[184:185], v[186:187], v[184:185]
	v_mul_f64 v[186:187], v[148:149], s[54:55]
	v_fma_f64 v[64:65], v[112:113], s[20:21], v[66:67]
	v_add_f64 v[68:69], v[68:69], v[150:151]
	v_fma_f64 v[26:27], v[106:107], s[18:19], v[136:137]
	v_add_f64 v[28:29], v[34:35], v[28:29]
	v_add_f64 v[18:19], v[22:23], v[18:19]
	;; [unrolled: 1-line block ×3, first 2 shown]
	v_fma_f64 v[200:201], v[138:139], s[56:57], v[229:230]
	v_add_f64 v[150:151], v[172:173], v[152:153]
	v_add_f64 v[58:59], v[176:177], v[60:61]
	v_mul_f64 v[60:61], v[160:161], s[40:41]
	v_mul_f64 v[148:149], v[148:149], s[36:37]
	v_fma_f64 v[32:33], v[124:125], s[10:11], v[62:63]
	v_add_f64 v[30:31], v[36:37], v[30:31]
	v_fma_f64 v[34:35], v[104:105], s[6:7], -v[50:51]
	v_add_f64 v[20:21], v[38:39], v[24:25]
	v_mul_f64 v[247:248], v[162:163], s[40:41]
	v_fma_f64 v[152:153], v[114:115], s[12:13], -v[186:187]
	v_fma_f64 v[156:157], v[124:125], s[46:47], v[62:63]
	v_add_f64 v[64:65], v[64:65], v[68:69]
	v_fma_f64 v[22:23], v[104:105], s[6:7], v[50:51]
	v_add_f64 v[24:25], v[26:27], v[28:29]
	v_add_f64 v[14:15], v[18:19], v[14:15]
	;; [unrolled: 1-line block ×4, first 2 shown]
	v_mul_f64 v[56:57], v[162:163], s[14:15]
	v_mul_f64 v[150:151], v[158:159], s[42:43]
	v_fma_f64 v[26:27], v[134:135], s[36:37], v[60:61]
	v_add_f64 v[28:29], v[32:33], v[30:31]
	v_fma_f64 v[30:31], v[114:115], s[40:41], -v[148:149]
	v_add_f64 v[16:17], v[34:35], v[20:21]
	v_mul_f64 v[221:222], v[158:159], s[56:57]
	v_add_f64 v[188:189], v[188:189], v[247:248]
	v_fma_f64 v[231:232], v[114:115], s[12:13], v[186:187]
	v_add_f64 v[54:55], v[152:153], v[58:59]
	v_fma_f64 v[58:59], v[134:135], s[48:49], v[60:61]
	;; [unrolled: 2-line block ×3, first 2 shown]
	v_add_f64 v[20:21], v[22:23], v[24:25]
	v_add_f64 v[10:11], v[14:15], v[10:11]
	;; [unrolled: 1-line block ×3, first 2 shown]
	v_fma_f64 v[22:23], v[138:139], s[42:43], v[56:57]
	v_add_f64 v[24:25], v[26:27], v[28:29]
	v_fma_f64 v[26:27], v[142:143], s[14:15], -v[150:151]
	v_add_f64 v[16:17], v[30:31], v[16:17]
	v_fma_f64 v[68:69], v[142:143], s[26:27], -v[221:222]
	v_add_f64 v[170:171], v[188:189], v[184:185]
	v_fma_f64 v[184:185], v[142:143], s[26:27], v[221:222]
	v_add_f64 v[188:189], v[231:232], v[233:234]
	v_fma_f64 v[28:29], v[138:139], s[16:17], v[56:57]
	;; [unrolled: 2-line block ×3, first 2 shown]
	v_add_f64 v[18:19], v[18:19], v[20:21]
	v_add_f64 v[12:13], v[10:11], v[6:7]
	;; [unrolled: 1-line block ×6, first 2 shown]
	v_mul_u32_u24_e32 v4, 0x110, v100
	v_add3_u32 v4, 0, v4, v208
	v_add_f64 v[172:173], v[184:185], v[188:189]
	v_add_f64 v[16:17], v[28:29], v[30:31]
	;; [unrolled: 1-line block ×3, first 2 shown]
	ds_write_b128 v4, v[10:13]
	ds_write_b128 v4, v[6:9] offset:16
	ds_write_b128 v4, v[50:53] offset:32
	;; [unrolled: 1-line block ×16, first 2 shown]
.LBB0_18:
	s_or_b64 exec, exec, s[38:39]
	s_movk_i32 s4, 0xf1
	v_mul_lo_u16_sdwa v64, v100, s4 dst_sel:DWORD dst_unused:UNUSED_PAD src0_sel:BYTE_0 src1_sel:DWORD
	v_lshrrev_b16_e32 v99, 12, v64
	v_add_u16_e32 v62, 0x55, v100
	v_add_u16_e32 v60, 0xaa, v100
	v_mul_lo_u16_e32 v4, 17, v99
	v_mul_lo_u16_sdwa v63, v62, s4 dst_sel:DWORD dst_unused:UNUSED_PAD src0_sel:BYTE_0 src1_sel:DWORD
	v_mul_lo_u16_sdwa v13, v60, s4 dst_sel:DWORD dst_unused:UNUSED_PAD src0_sel:BYTE_0 src1_sel:DWORD
	v_sub_u16_e32 v4, v100, v4
	v_mov_b32_e32 v61, 4
	v_lshrrev_b16_e32 v113, 12, v63
	v_lshrrev_b16_e32 v115, 12, v13
	v_lshlrev_b32_sdwa v112, v61, v4 dst_sel:DWORD dst_unused:UNUSED_PAD src0_sel:DWORD src1_sel:BYTE_0
	v_mul_lo_u16_e32 v4, 17, v113
	v_mul_lo_u16_e32 v13, 17, v115
	v_add_u32_e32 v12, 0xff, v100
	v_add_u32_e32 v20, 0x154, v100
	v_sub_u16_e32 v4, v62, v4
	v_sub_u16_e32 v13, v60, v13
	s_mov_b32 s4, 0xf0f1
	s_waitcnt lgkmcnt(0)
	s_barrier
	v_lshlrev_b32_sdwa v114, v61, v4 dst_sel:DWORD dst_unused:UNUSED_PAD src0_sel:DWORD src1_sel:BYTE_0
	global_load_dwordx4 v[4:7], v112, s[8:9]
	global_load_dwordx4 v[8:11], v114, s[8:9]
	v_lshlrev_b32_sdwa v116, v61, v13 dst_sel:DWORD dst_unused:UNUSED_PAD src0_sel:DWORD src1_sel:BYTE_0
	v_mul_u32_u24_sdwa v13, v12, s4 dst_sel:DWORD dst_unused:UNUSED_PAD src0_sel:WORD_0 src1_sel:DWORD
	v_mul_u32_u24_sdwa v22, v20, s4 dst_sel:DWORD dst_unused:UNUSED_PAD src0_sel:WORD_0 src1_sel:DWORD
	v_lshrrev_b32_e32 v117, 20, v13
	v_lshrrev_b32_e32 v119, 20, v22
	v_mul_lo_u16_e32 v13, 17, v117
	v_mul_lo_u16_e32 v22, 17, v119
	v_add_u32_e32 v21, 0x1a9, v100
	v_sub_u16_e32 v12, v12, v13
	v_sub_u16_e32 v20, v20, v22
	v_lshlrev_b32_e32 v118, 4, v12
	global_load_dwordx4 v[12:15], v116, s[8:9]
	global_load_dwordx4 v[16:19], v118, s[8:9]
	v_lshlrev_b32_e32 v120, 4, v20
	v_mul_u32_u24_sdwa v20, v21, s4 dst_sel:DWORD dst_unused:UNUSED_PAD src0_sel:WORD_0 src1_sel:DWORD
	v_add_u32_e32 v28, 0x1fe, v100
	v_lshrrev_b32_e32 v121, 20, v20
	v_mul_lo_u16_e32 v20, 17, v121
	v_mul_u32_u24_sdwa v29, v28, s4 dst_sel:DWORD dst_unused:UNUSED_PAD src0_sel:WORD_0 src1_sel:DWORD
	v_sub_u16_e32 v20, v21, v20
	v_lshrrev_b32_e32 v123, 20, v29
	v_lshlrev_b32_e32 v122, 4, v20
	global_load_dwordx4 v[20:23], v120, s[8:9]
	global_load_dwordx4 v[24:27], v122, s[8:9]
	v_mul_lo_u16_e32 v29, 17, v123
	v_sub_u16_e32 v28, v28, v29
	v_lshlrev_b32_e32 v124, 4, v28
	global_load_dwordx4 v[28:31], v124, s[8:9]
	ds_read_b128 v[32:35], v101 offset:9520
	ds_read_b128 v[36:39], v207
	ds_read_b128 v[40:43], v101 offset:1360
	ds_read_b128 v[44:47], v101 offset:10880
	;; [unrolled: 1-line block ×12, first 2 shown]
	s_movk_i32 s4, 0x220
	s_waitcnt vmcnt(0) lgkmcnt(0)
	s_barrier
	v_mul_f64 v[93:94], v[34:35], v[6:7]
	v_mul_f64 v[6:7], v[32:33], v[6:7]
	;; [unrolled: 1-line block ×4, first 2 shown]
	v_fma_f64 v[32:33], v[32:33], v[4:5], -v[93:94]
	v_fma_f64 v[4:5], v[34:35], v[4:5], v[6:7]
	v_fma_f64 v[6:7], v[44:45], v[8:9], -v[95:96]
	v_fma_f64 v[8:9], v[46:47], v[8:9], v[10:11]
	v_mul_f64 v[97:98], v[50:51], v[14:15]
	v_mul_f64 v[14:15], v[48:49], v[14:15]
	;; [unrolled: 1-line block ×4, first 2 shown]
	v_fma_f64 v[10:11], v[48:49], v[12:13], -v[97:98]
	v_fma_f64 v[12:13], v[50:51], v[12:13], v[14:15]
	v_mul_f64 v[106:107], v[71:72], v[22:23]
	v_mul_f64 v[22:23], v[69:70], v[22:23]
	;; [unrolled: 1-line block ×4, first 2 shown]
	v_fma_f64 v[14:15], v[65:66], v[16:17], -v[104:105]
	v_mul_f64 v[110:111], v[91:92], v[30:31]
	v_mul_f64 v[30:31], v[89:90], v[30:31]
	v_fma_f64 v[16:17], v[67:68], v[16:17], v[18:19]
	v_fma_f64 v[18:19], v[69:70], v[20:21], -v[106:107]
	v_fma_f64 v[46:47], v[71:72], v[20:21], v[22:23]
	v_add_f64 v[20:21], v[36:37], -v[32:33]
	v_add_f64 v[22:23], v[38:39], -v[4:5]
	v_fma_f64 v[65:66], v[85:86], v[24:25], -v[108:109]
	v_fma_f64 v[67:68], v[87:88], v[24:25], v[26:27]
	v_add_f64 v[24:25], v[40:41], -v[6:7]
	v_add_f64 v[26:27], v[42:43], -v[8:9]
	;; [unrolled: 4-line block ×3, first 2 shown]
	v_add_f64 v[32:33], v[56:57], -v[14:15]
	v_add_f64 v[34:35], v[58:59], -v[16:17]
	;; [unrolled: 1-line block ×3, first 2 shown]
	v_fma_f64 v[36:37], v[36:37], 2.0, -v[20:21]
	v_fma_f64 v[38:39], v[38:39], 2.0, -v[22:23]
	v_add_f64 v[46:47], v[75:76], -v[46:47]
	v_fma_f64 v[40:41], v[40:41], 2.0, -v[24:25]
	v_fma_f64 v[42:43], v[42:43], 2.0, -v[26:27]
	v_add_f64 v[8:9], v[77:78], -v[65:66]
	v_add_f64 v[10:11], v[79:80], -v[67:68]
	v_fma_f64 v[48:49], v[52:53], 2.0, -v[28:29]
	v_fma_f64 v[50:51], v[54:55], 2.0, -v[30:31]
	v_add_f64 v[12:13], v[81:82], -v[69:70]
	v_add_f64 v[14:15], v[83:84], -v[71:72]
	v_fma_f64 v[52:53], v[56:57], 2.0, -v[32:33]
	v_fma_f64 v[54:55], v[58:59], 2.0, -v[34:35]
	v_mad_u32_u24 v65, v99, s4, 0
	v_add3_u32 v65, v65, v112, v208
	v_fma_f64 v[56:57], v[73:74], 2.0, -v[44:45]
	v_fma_f64 v[58:59], v[75:76], 2.0, -v[46:47]
	ds_write_b128 v65, v[36:39]
	ds_write_b128 v65, v[20:23] offset:272
	v_mad_u32_u24 v20, v113, s4, 0
	v_add3_u32 v20, v20, v114, v208
	v_fma_f64 v[4:5], v[77:78], 2.0, -v[8:9]
	v_fma_f64 v[6:7], v[79:80], 2.0, -v[10:11]
	ds_write_b128 v20, v[40:43]
	ds_write_b128 v20, v[24:27] offset:272
	;; [unrolled: 6-line block ×3, first 2 shown]
	v_mad_u32_u24 v20, v117, s4, 0
	v_add3_u32 v20, v20, v118, v208
	ds_write_b128 v20, v[52:55]
	ds_write_b128 v20, v[32:35] offset:272
	v_mad_u32_u24 v20, v119, s4, 0
	v_add3_u32 v20, v20, v120, v208
	ds_write_b128 v20, v[56:59]
	ds_write_b128 v20, v[44:47] offset:272
	v_mad_u32_u24 v20, v121, s4, 0
	v_add3_u32 v20, v20, v122, v208
	ds_write_b128 v20, v[4:7]
	ds_write_b128 v20, v[8:11] offset:272
	v_mad_u32_u24 v20, v123, s4, 0
	v_add3_u32 v20, v20, v124, v208
	ds_write_b128 v20, v[16:19]
	ds_write_b128 v20, v[12:15] offset:272
	s_waitcnt lgkmcnt(0)
	s_barrier
	ds_read_b128 v[24:27], v207
	ds_read_b128 v[20:23], v101 offset:1360
	ds_read_b128 v[44:47], v101 offset:3808
	;; [unrolled: 1-line block ×9, first 2 shown]
	s_movk_i32 s4, 0x44
	v_cmp_gt_u32_e32 vcc, s4, v100
	s_and_saveexec_b64 s[4:5], vcc
	s_cbranch_execz .LBB0_20
; %bb.19:
	ds_read_b128 v[4:7], v101 offset:2720
	ds_read_b128 v[8:11], v101 offset:6528
	;; [unrolled: 1-line block ×5, first 2 shown]
.LBB0_20:
	s_or_b64 exec, exec, s[4:5]
	v_lshrrev_b16_e32 v99, 13, v64
	v_mul_lo_u16_e32 v64, 34, v99
	v_lshrrev_b16_e32 v117, 13, v63
	v_sub_u16_e32 v116, v100, v64
	v_mov_b32_e32 v64, 6
	v_mul_lo_u16_e32 v63, 34, v117
	v_lshlrev_b32_sdwa v81, v64, v116 dst_sel:DWORD dst_unused:UNUSED_PAD src0_sel:DWORD src1_sel:BYTE_0
	v_sub_u16_e32 v118, v62, v63
	global_load_dwordx4 v[65:68], v81, s[8:9] offset:272
	global_load_dwordx4 v[69:72], v81, s[8:9] offset:288
	global_load_dwordx4 v[73:76], v81, s[8:9] offset:320
	global_load_dwordx4 v[77:80], v81, s[8:9] offset:304
	v_lshlrev_b32_sdwa v62, v64, v118 dst_sel:DWORD dst_unused:UNUSED_PAD src0_sel:DWORD src1_sel:BYTE_0
	global_load_dwordx4 v[81:84], v62, s[8:9] offset:272
	global_load_dwordx4 v[85:88], v62, s[8:9] offset:288
	;; [unrolled: 1-line block ×4, first 2 shown]
	s_mov_b32 s10, 0x134454ff
	s_mov_b32 s11, 0x3fee6f0e
	;; [unrolled: 1-line block ×10, first 2 shown]
	s_movk_i32 s18, 0xaa0
	s_waitcnt vmcnt(0) lgkmcnt(0)
	s_barrier
	v_mul_f64 v[62:63], v[46:47], v[67:68]
	v_mul_f64 v[67:68], v[44:45], v[67:68]
	v_mul_f64 v[97:98], v[50:51], v[71:72]
	v_mul_f64 v[71:72], v[48:49], v[71:72]
	v_mul_f64 v[104:105], v[54:55], v[79:80]
	v_mul_f64 v[79:80], v[52:53], v[79:80]
	v_mul_f64 v[106:107], v[58:59], v[75:76]
	v_mul_f64 v[75:76], v[56:57], v[75:76]
	v_mul_f64 v[108:109], v[30:31], v[83:84]
	v_mul_f64 v[110:111], v[34:35], v[87:88]
	v_mul_f64 v[112:113], v[38:39], v[91:92]
	v_mul_f64 v[83:84], v[28:29], v[83:84]
	v_mul_f64 v[91:92], v[36:37], v[91:92]
	v_mul_f64 v[114:115], v[42:43], v[95:96]
	v_mul_f64 v[95:96], v[40:41], v[95:96]
	v_fma_f64 v[44:45], v[44:45], v[65:66], -v[62:63]
	v_fma_f64 v[46:47], v[46:47], v[65:66], v[67:68]
	v_fma_f64 v[48:49], v[48:49], v[69:70], -v[97:98]
	v_fma_f64 v[50:51], v[50:51], v[69:70], v[71:72]
	;; [unrolled: 2-line block ×4, first 2 shown]
	v_fma_f64 v[62:63], v[28:29], v[81:82], -v[108:109]
	v_fma_f64 v[67:68], v[32:33], v[85:86], -v[110:111]
	;; [unrolled: 1-line block ×3, first 2 shown]
	v_mul_f64 v[87:88], v[32:33], v[87:88]
	v_fma_f64 v[65:66], v[30:31], v[81:82], v[83:84]
	v_fma_f64 v[73:74], v[38:39], v[89:90], v[91:92]
	v_fma_f64 v[75:76], v[40:41], v[93:94], -v[114:115]
	v_fma_f64 v[77:78], v[42:43], v[93:94], v[95:96]
	v_add_f64 v[28:29], v[24:25], v[44:45]
	v_add_f64 v[30:31], v[48:49], v[52:53]
	v_add_f64 v[36:37], v[44:45], -v[48:49]
	v_add_f64 v[38:39], v[56:57], -v[52:53]
	v_add_f64 v[40:41], v[44:45], v[56:57]
	v_add_f64 v[42:43], v[48:49], -v[44:45]
	v_add_f64 v[79:80], v[52:53], -v[56:57]
	v_add_f64 v[81:82], v[26:27], v[46:47]
	v_add_f64 v[83:84], v[50:51], v[54:55]
	;; [unrolled: 1-line block ×5, first 2 shown]
	v_fma_f64 v[69:70], v[34:35], v[85:86], v[87:88]
	v_add_f64 v[32:33], v[46:47], -v[58:59]
	v_add_f64 v[34:35], v[50:51], -v[54:55]
	;; [unrolled: 1-line block ×9, first 2 shown]
	v_add_f64 v[112:113], v[62:63], v[75:76]
	v_add_f64 v[28:29], v[28:29], v[48:49]
	v_fma_f64 v[30:31], v[30:31], -0.5, v[24:25]
	v_add_f64 v[36:37], v[36:37], v[38:39]
	v_fma_f64 v[24:25], v[40:41], -0.5, v[24:25]
	v_add_f64 v[38:39], v[42:43], v[79:80]
	v_add_f64 v[40:41], v[81:82], v[50:51]
	v_fma_f64 v[42:43], v[83:84], -0.5, v[26:27]
	v_fma_f64 v[26:27], v[91:92], -0.5, v[26:27]
	v_add_f64 v[50:51], v[95:96], v[67:68]
	v_fma_f64 v[79:80], v[97:98], -0.5, v[20:21]
	v_add_f64 v[106:107], v[69:70], -v[73:74]
	v_add_f64 v[108:109], v[62:63], -v[67:68]
	;; [unrolled: 1-line block ×3, first 2 shown]
	v_add_f64 v[48:49], v[87:88], v[89:90]
	v_add_f64 v[46:47], v[46:47], v[93:94]
	v_fma_f64 v[83:84], v[112:113], -0.5, v[20:21]
	v_add_f64 v[20:21], v[28:29], v[52:53]
	v_fma_f64 v[28:29], v[32:33], s[10:11], v[30:31]
	v_fma_f64 v[30:31], v[32:33], s[14:15], v[30:31]
	;; [unrolled: 1-line block ×3, first 2 shown]
	v_add_f64 v[40:41], v[40:41], v[54:55]
	v_fma_f64 v[54:55], v[44:45], s[14:15], v[42:43]
	v_fma_f64 v[42:43], v[44:45], s[10:11], v[42:43]
	;; [unrolled: 1-line block ×4, first 2 shown]
	v_add_f64 v[50:51], v[50:51], v[71:72]
	v_fma_f64 v[93:94], v[104:105], s[10:11], v[79:80]
	v_fma_f64 v[87:88], v[34:35], s[10:11], v[24:25]
	v_add_f64 v[81:82], v[108:109], v[110:111]
	v_add_f64 v[24:25], v[20:21], v[56:57]
	v_fma_f64 v[28:29], v[34:35], s[6:7], v[28:29]
	v_fma_f64 v[30:31], v[34:35], s[12:13], v[30:31]
	v_fma_f64 v[34:35], v[32:33], s[6:7], v[52:53]
	v_fma_f64 v[42:43], v[85:86], s[6:7], v[42:43]
	v_fma_f64 v[56:57], v[44:45], s[12:13], v[89:90]
	v_fma_f64 v[44:45], v[44:45], s[6:7], v[91:92]
	v_add_f64 v[20:21], v[50:51], v[75:76]
	v_fma_f64 v[50:51], v[106:107], s[6:7], v[93:94]
	v_fma_f64 v[52:53], v[32:33], s[12:13], v[87:88]
	;; [unrolled: 1-line block ×3, first 2 shown]
	v_add_f64 v[114:115], v[69:70], v[73:74]
	v_fma_f64 v[28:29], v[36:37], s[4:5], v[28:29]
	v_fma_f64 v[32:33], v[36:37], s[4:5], v[30:31]
	;; [unrolled: 1-line block ×6, first 2 shown]
	v_add_f64 v[50:51], v[65:66], v[77:78]
	v_add_f64 v[26:27], v[40:41], v[58:59]
	v_fma_f64 v[40:41], v[38:39], s[4:5], v[52:53]
	v_fma_f64 v[30:31], v[48:49], s[4:5], v[54:55]
	v_add_f64 v[48:49], v[67:68], -v[62:63]
	v_add_f64 v[52:53], v[71:72], -v[75:76]
	v_add_f64 v[54:55], v[22:23], v[65:66]
	v_fma_f64 v[38:39], v[46:47], s[4:5], v[56:57]
	v_fma_f64 v[56:57], v[114:115], -0.5, v[22:23]
	v_add_f64 v[58:59], v[62:63], -v[75:76]
	v_fma_f64 v[79:80], v[104:105], s[14:15], v[79:80]
	v_add_f64 v[67:68], v[67:68], -v[71:72]
	v_fma_f64 v[22:23], v[50:51], -0.5, v[22:23]
	v_add_f64 v[50:51], v[48:49], v[52:53]
	v_add_f64 v[52:53], v[54:55], v[69:70]
	v_fma_f64 v[46:47], v[106:107], s[14:15], v[83:84]
	v_add_f64 v[71:72], v[65:66], -v[69:70]
	v_fma_f64 v[54:55], v[58:59], s[14:15], v[56:57]
	v_add_f64 v[75:76], v[77:78], -v[73:74]
	v_fma_f64 v[62:63], v[106:107], s[12:13], v[79:80]
	v_fma_f64 v[79:80], v[67:68], s[10:11], v[22:23]
	v_add_f64 v[65:66], v[69:70], -v[65:66]
	v_add_f64 v[69:70], v[73:74], -v[77:78]
	v_fma_f64 v[48:49], v[106:107], s[10:11], v[83:84]
	v_fma_f64 v[22:23], v[67:68], s[14:15], v[22:23]
	;; [unrolled: 1-line block ×3, first 2 shown]
	v_add_f64 v[73:74], v[52:53], v[73:74]
	v_fma_f64 v[46:47], v[104:105], s[6:7], v[46:47]
	v_fma_f64 v[54:55], v[67:68], s[12:13], v[54:55]
	v_add_f64 v[71:72], v[71:72], v[75:76]
	v_fma_f64 v[75:76], v[58:59], s[12:13], v[79:80]
	v_add_f64 v[65:66], v[65:66], v[69:70]
	v_fma_f64 v[83:84], v[104:105], s[12:13], v[48:49]
	v_fma_f64 v[58:59], v[58:59], s[6:7], v[22:23]
	;; [unrolled: 1-line block ×3, first 2 shown]
	v_add_f64 v[22:23], v[73:74], v[77:78]
	v_fma_f64 v[52:53], v[50:51], s[4:5], v[46:47]
	v_fma_f64 v[46:47], v[71:72], s[4:5], v[54:55]
	;; [unrolled: 1-line block ×7, first 2 shown]
	v_mad_u32_u24 v62, v99, s18, 0
	v_lshlrev_b32_sdwa v63, v61, v116 dst_sel:DWORD dst_unused:UNUSED_PAD src0_sel:DWORD src1_sel:BYTE_0
	v_add3_u32 v62, v62, v63, v208
	ds_write_b128 v62, v[24:27]
	ds_write_b128 v62, v[28:31] offset:544
	ds_write_b128 v62, v[36:39] offset:1088
	;; [unrolled: 1-line block ×4, first 2 shown]
	v_mad_u32_u24 v24, v117, s18, 0
	v_lshlrev_b32_sdwa v25, v61, v118 dst_sel:DWORD dst_unused:UNUSED_PAD src0_sel:DWORD src1_sel:BYTE_0
	v_add3_u32 v24, v24, v25, v208
	ds_write_b128 v24, v[20:23]
	ds_write_b128 v24, v[44:47] offset:544
	ds_write_b128 v24, v[52:55] offset:1088
	;; [unrolled: 1-line block ×4, first 2 shown]
	s_and_saveexec_b64 s[16:17], vcc
	s_cbranch_execz .LBB0_22
; %bb.21:
	s_movk_i32 s19, 0xf1
	v_mul_lo_u16_sdwa v20, v60, s19 dst_sel:DWORD dst_unused:UNUSED_PAD src0_sel:BYTE_0 src1_sel:DWORD
	v_lshrrev_b16_e32 v52, 13, v20
	v_mul_lo_u16_e32 v20, 34, v52
	v_sub_u16_e32 v53, v60, v20
	v_lshlrev_b32_sdwa v36, v64, v53 dst_sel:DWORD dst_unused:UNUSED_PAD src0_sel:DWORD src1_sel:BYTE_0
	global_load_dwordx4 v[20:23], v36, s[8:9] offset:288
	global_load_dwordx4 v[24:27], v36, s[8:9] offset:272
	;; [unrolled: 1-line block ×4, first 2 shown]
	v_mov_b32_e32 v54, 4
	s_waitcnt vmcnt(3)
	v_mul_f64 v[36:37], v[16:17], v[22:23]
	s_waitcnt vmcnt(2)
	v_mul_f64 v[38:39], v[8:9], v[26:27]
	;; [unrolled: 2-line block ×4, first 2 shown]
	v_mul_f64 v[26:27], v[10:11], v[26:27]
	v_mul_f64 v[34:35], v[2:3], v[34:35]
	;; [unrolled: 1-line block ×4, first 2 shown]
	v_fma_f64 v[18:19], v[18:19], v[20:21], v[36:37]
	v_fma_f64 v[10:11], v[10:11], v[24:25], v[38:39]
	v_fma_f64 v[14:15], v[14:15], v[28:29], v[40:41]
	v_fma_f64 v[2:3], v[2:3], v[32:33], v[42:43]
	v_fma_f64 v[8:9], v[8:9], v[24:25], -v[26:27]
	v_fma_f64 v[0:1], v[0:1], v[32:33], -v[34:35]
	;; [unrolled: 1-line block ×4, first 2 shown]
	v_add_f64 v[20:21], v[18:19], -v[10:11]
	v_add_f64 v[30:31], v[10:11], -v[18:19]
	;; [unrolled: 1-line block ×3, first 2 shown]
	v_add_f64 v[26:27], v[10:11], v[2:3]
	v_add_f64 v[32:33], v[2:3], -v[14:15]
	v_add_f64 v[34:35], v[18:19], v[14:15]
	v_add_f64 v[44:45], v[8:9], v[0:1]
	;; [unrolled: 1-line block ×4, first 2 shown]
	v_add_f64 v[24:25], v[8:9], -v[0:1]
	v_add_f64 v[38:39], v[16:17], -v[8:9]
	;; [unrolled: 1-line block ×3, first 2 shown]
	v_add_f64 v[8:9], v[4:5], v[8:9]
	v_add_f64 v[28:29], v[16:17], -v[12:13]
	v_add_f64 v[40:41], v[12:13], -v[0:1]
	;; [unrolled: 1-line block ×3, first 2 shown]
	v_add_f64 v[20:21], v[20:21], v[22:23]
	v_fma_f64 v[22:23], v[26:27], -0.5, v[6:7]
	v_add_f64 v[26:27], v[30:31], v[32:33]
	v_fma_f64 v[6:7], v[34:35], -0.5, v[6:7]
	v_fma_f64 v[32:33], v[44:45], -0.5, v[4:5]
	;; [unrolled: 1-line block ×3, first 2 shown]
	v_add_f64 v[42:43], v[18:19], -v[14:15]
	v_add_f64 v[18:19], v[36:37], v[18:19]
	v_add_f64 v[8:9], v[8:9], v[16:17]
	v_add_f64 v[48:49], v[0:1], -v[12:13]
	v_add_f64 v[30:31], v[38:39], v[40:41]
	v_fma_f64 v[16:17], v[28:29], s[14:15], v[22:23]
	v_fma_f64 v[22:23], v[28:29], s[10:11], v[22:23]
	;; [unrolled: 1-line block ×6, first 2 shown]
	v_add_f64 v[14:15], v[18:19], v[14:15]
	v_fma_f64 v[18:19], v[42:43], s[10:11], v[32:33]
	v_fma_f64 v[32:33], v[42:43], s[14:15], v[32:33]
	v_add_f64 v[8:9], v[8:9], v[12:13]
	v_add_f64 v[34:35], v[46:47], v[48:49]
	v_fma_f64 v[12:13], v[24:25], s[6:7], v[16:17]
	v_fma_f64 v[16:17], v[24:25], s[12:13], v[22:23]
	;; [unrolled: 1-line block ×8, first 2 shown]
	v_add_f64 v[2:3], v[14:15], v[2:3]
	v_add_f64 v[0:1], v[8:9], v[0:1]
	v_fma_f64 v[10:11], v[20:21], s[4:5], v[16:17]
	v_fma_f64 v[18:19], v[26:27], s[4:5], v[24:25]
	;; [unrolled: 1-line block ×8, first 2 shown]
	v_mad_u32_u24 v20, v52, s18, 0
	v_lshlrev_b32_sdwa v21, v54, v53 dst_sel:DWORD dst_unused:UNUSED_PAD src0_sel:DWORD src1_sel:BYTE_0
	v_add3_u32 v20, v20, v21, v208
	ds_write_b128 v20, v[0:3]
	ds_write_b128 v20, v[16:19] offset:544
	ds_write_b128 v20, v[8:11] offset:1088
	;; [unrolled: 1-line block ×4, first 2 shown]
.LBB0_22:
	s_or_b64 exec, exec, s[16:17]
	v_mul_u32_u24_e32 v0, 6, v100
	v_lshlrev_b32_e32 v24, 4, v0
	v_mov_b32_e32 v8, s9
	v_add_co_u32_e32 v25, vcc, s8, v24
	s_waitcnt lgkmcnt(0)
	s_barrier
	global_load_dwordx4 v[0:3], v24, s[8:9] offset:2464
	global_load_dwordx4 v[4:7], v24, s[8:9] offset:2448
	v_addc_co_u32_e32 v26, vcc, 0, v8, vcc
	global_load_dwordx4 v[8:11], v24, s[8:9] offset:2496
	global_load_dwordx4 v[12:15], v24, s[8:9] offset:2480
	;; [unrolled: 1-line block ×4, first 2 shown]
	s_movk_i32 s4, 0x1fe0
	v_add_co_u32_e32 v48, vcc, s4, v25
	v_addc_co_u32_e32 v49, vcc, 0, v26, vcc
	global_load_dwordx4 v[24:27], v[48:49], off offset:2448
	global_load_dwordx4 v[28:31], v[48:49], off offset:2464
	;; [unrolled: 1-line block ×6, first 2 shown]
	ds_read_b128 v[48:51], v207
	ds_read_b128 v[52:55], v101 offset:1360
	ds_read_b128 v[56:59], v101 offset:2720
	;; [unrolled: 1-line block ×13, first 2 shown]
	s_mov_b32 s4, 0x37e14327
	s_mov_b32 s6, 0x36b3c0b5
	;; [unrolled: 1-line block ×20, first 2 shown]
	s_waitcnt vmcnt(0) lgkmcnt(0)
	s_barrier
	v_mul_f64 v[110:111], v[66:67], v[2:3]
	v_mul_f64 v[108:109], v[58:59], v[6:7]
	;; [unrolled: 1-line block ×22, first 2 shown]
	v_fma_f64 v[56:57], v[56:57], v[4:5], -v[108:109]
	v_fma_f64 v[4:5], v[58:59], v[4:5], v[6:7]
	v_fma_f64 v[6:7], v[64:65], v[0:1], -v[110:111]
	v_fma_f64 v[0:1], v[66:67], v[0:1], v[2:3]
	;; [unrolled: 2-line block ×11, first 2 shown]
	v_add_f64 v[18:19], v[56:57], v[22:23]
	v_add_f64 v[42:43], v[4:5], v[16:17]
	v_add_f64 v[22:23], v[56:57], -v[22:23]
	v_add_f64 v[4:5], v[4:5], -v[16:17]
	v_add_f64 v[16:17], v[6:7], v[10:11]
	v_add_f64 v[56:57], v[0:1], v[20:21]
	v_add_f64 v[6:7], v[6:7], -v[10:11]
	v_add_f64 v[0:1], v[0:1], -v[20:21]
	;; [unrolled: 4-line block ×4, first 2 shown]
	v_add_f64 v[18:19], v[18:19], -v[10:11]
	v_add_f64 v[42:43], v[42:43], -v[20:21]
	v_add_f64 v[16:17], v[10:11], -v[16:17]
	v_add_f64 v[56:57], v[20:21], -v[56:57]
	v_add_f64 v[64:65], v[2:3], v[6:7]
	v_add_f64 v[66:67], v[8:9], v[0:1]
	v_add_f64 v[68:69], v[2:3], -v[6:7]
	v_add_f64 v[70:71], v[8:9], -v[0:1]
	v_add_f64 v[10:11], v[10:11], v[12:13]
	v_add_f64 v[12:13], v[20:21], v[14:15]
	v_add_f64 v[6:7], v[6:7], -v[22:23]
	v_add_f64 v[20:21], v[0:1], -v[4:5]
	;; [unrolled: 1-line block ×4, first 2 shown]
	v_add_f64 v[22:23], v[64:65], v[22:23]
	v_add_f64 v[4:5], v[66:67], v[4:5]
	;; [unrolled: 1-line block ×4, first 2 shown]
	v_mul_f64 v[18:19], v[18:19], s[4:5]
	v_mul_f64 v[42:43], v[42:43], s[4:5]
	;; [unrolled: 1-line block ×10, first 2 shown]
	v_fma_f64 v[10:11], v[10:11], s[12:13], v[0:1]
	v_fma_f64 v[12:13], v[12:13], s[12:13], v[2:3]
	;; [unrolled: 1-line block ×4, first 2 shown]
	v_fma_f64 v[48:49], v[60:61], s[14:15], -v[48:49]
	v_fma_f64 v[50:51], v[62:63], s[14:15], -v[50:51]
	;; [unrolled: 1-line block ×4, first 2 shown]
	v_fma_f64 v[60:61], v[14:15], s[18:19], v[64:65]
	v_fma_f64 v[62:63], v[8:9], s[18:19], v[66:67]
	v_fma_f64 v[6:7], v[6:7], s[8:9], -v[64:65]
	v_fma_f64 v[20:21], v[20:21], s[8:9], -v[66:67]
	v_fma_f64 v[14:15], v[14:15], s[22:23], -v[68:69]
	v_fma_f64 v[8:9], v[8:9], s[22:23], -v[70:71]
	v_add_f64 v[64:65], v[16:17], v[10:11]
	v_add_f64 v[16:17], v[48:49], v[10:11]
	;; [unrolled: 1-line block ×5, first 2 shown]
	v_fma_f64 v[18:19], v[4:5], s[20:21], v[20:21]
	v_fma_f64 v[68:69], v[22:23], s[20:21], v[14:15]
	;; [unrolled: 1-line block ×4, first 2 shown]
	v_fma_f64 v[70:71], v[104:105], v[44:45], -v[130:131]
	v_fma_f64 v[44:45], v[106:107], v[44:45], v[46:47]
	v_add_f64 v[56:57], v[56:57], v[12:13]
	v_fma_f64 v[60:61], v[22:23], s[20:21], v[60:61]
	v_add_f64 v[12:13], v[16:17], -v[18:19]
	v_add_f64 v[10:11], v[42:43], -v[68:69]
	v_add_f64 v[8:9], v[66:67], v[50:51]
	v_add_f64 v[14:15], v[20:21], v[48:49]
	;; [unrolled: 1-line block ×3, first 2 shown]
	v_add_f64 v[18:19], v[48:49], -v[20:21]
	v_add_f64 v[20:21], v[50:51], -v[66:67]
	v_add_f64 v[22:23], v[68:69], v[42:43]
	v_add_f64 v[42:43], v[58:59], v[70:71]
	;; [unrolled: 1-line block ×3, first 2 shown]
	v_add_f64 v[24:25], v[24:25], -v[44:45]
	v_add_f64 v[44:45], v[26:27], v[38:39]
	v_add_f64 v[50:51], v[28:29], v[40:41]
	v_add_f64 v[48:49], v[58:59], -v[70:71]
	v_add_f64 v[26:27], v[26:27], -v[38:39]
	;; [unrolled: 1-line block ×3, first 2 shown]
	v_add_f64 v[38:39], v[30:31], v[34:35]
	v_add_f64 v[40:41], v[32:33], v[36:37]
	v_add_f64 v[30:31], v[34:35], -v[30:31]
	v_add_f64 v[32:33], v[36:37], -v[32:33]
	v_add_f64 v[34:35], v[44:45], v[42:43]
	v_add_f64 v[36:37], v[50:51], v[46:47]
	v_add_f64 v[58:59], v[44:45], -v[42:43]
	v_add_f64 v[66:67], v[50:51], -v[46:47]
	;; [unrolled: 1-line block ×6, first 2 shown]
	v_add_f64 v[68:69], v[30:31], v[26:27]
	v_add_f64 v[70:71], v[32:33], v[28:29]
	v_add_f64 v[72:73], v[30:31], -v[26:27]
	v_add_f64 v[74:75], v[32:33], -v[28:29]
	v_add_f64 v[34:35], v[38:39], v[34:35]
	v_add_f64 v[36:37], v[40:41], v[36:37]
	v_add_f64 v[38:39], v[26:27], -v[48:49]
	v_add_f64 v[28:29], v[28:29], -v[24:25]
	;; [unrolled: 1-line block ×4, first 2 shown]
	v_add_f64 v[40:41], v[68:69], v[48:49]
	v_add_f64 v[48:49], v[70:71], v[24:25]
	;; [unrolled: 1-line block ×4, first 2 shown]
	v_mul_f64 v[42:43], v[42:43], s[4:5]
	v_mul_f64 v[46:47], v[46:47], s[4:5]
	;; [unrolled: 1-line block ×8, first 2 shown]
	v_fma_f64 v[34:35], v[34:35], s[12:13], v[24:25]
	v_fma_f64 v[36:37], v[36:37], s[12:13], v[26:27]
	;; [unrolled: 1-line block ×4, first 2 shown]
	v_fma_f64 v[52:53], v[58:59], s[14:15], -v[52:53]
	v_fma_f64 v[54:55], v[66:67], s[14:15], -v[54:55]
	;; [unrolled: 1-line block ×4, first 2 shown]
	v_fma_f64 v[58:59], v[30:31], s[18:19], v[68:69]
	v_fma_f64 v[66:67], v[32:33], s[18:19], v[70:71]
	v_fma_f64 v[38:39], v[38:39], s[8:9], -v[68:69]
	v_fma_f64 v[28:29], v[28:29], s[8:9], -v[70:71]
	;; [unrolled: 1-line block ×4, first 2 shown]
	v_fma_f64 v[62:63], v[4:5], s[20:21], v[62:63]
	v_add_f64 v[68:69], v[44:45], v[34:35]
	v_add_f64 v[70:71], v[50:51], v[36:37]
	;; [unrolled: 1-line block ×6, first 2 shown]
	v_fma_f64 v[66:67], v[48:49], s[20:21], v[66:67]
	v_fma_f64 v[58:59], v[40:41], s[20:21], v[58:59]
	v_fma_f64 v[72:73], v[48:49], s[20:21], v[32:33]
	v_fma_f64 v[74:75], v[40:41], s[20:21], v[30:31]
	v_fma_f64 v[46:47], v[48:49], s[20:21], v[28:29]
	v_fma_f64 v[48:49], v[40:41], s[20:21], v[38:39]
	v_add_f64 v[4:5], v[62:63], v[64:65]
	v_add_f64 v[6:7], v[56:57], -v[60:61]
	v_add_f64 v[28:29], v[64:65], -v[62:63]
	v_add_f64 v[30:31], v[60:61], v[56:57]
	v_add_f64 v[32:33], v[66:67], v[68:69]
	v_add_f64 v[34:35], v[70:71], -v[58:59]
	v_add_f64 v[36:37], v[72:73], v[52:53]
	v_add_f64 v[38:39], v[54:55], -v[74:75]
	v_add_f64 v[40:41], v[44:45], -v[46:47]
	v_add_f64 v[42:43], v[48:49], v[50:51]
	v_add_f64 v[44:45], v[46:47], v[44:45]
	v_add_f64 v[46:47], v[50:51], -v[48:49]
	v_add_f64 v[48:49], v[52:53], -v[72:73]
	v_add_f64 v[50:51], v[74:75], v[54:55]
	v_add_f64 v[52:53], v[68:69], -v[66:67]
	v_add_f64 v[54:55], v[58:59], v[70:71]
	ds_write_b128 v101, v[0:3]
	ds_write_b128 v101, v[4:7] offset:2720
	ds_write_b128 v101, v[8:11] offset:5440
	;; [unrolled: 1-line block ×13, first 2 shown]
	s_waitcnt lgkmcnt(0)
	s_barrier
	s_and_saveexec_b64 s[4:5], s[0:1]
	s_cbranch_execz .LBB0_24
; %bb.23:
	v_lshl_add_u32 v10, v100, 4, v206
	v_mov_b32_e32 v101, 0
	ds_read_b128 v[0:3], v10
	v_mov_b32_e32 v4, s3
	v_add_co_u32_e32 v11, vcc, s2, v102
	v_addc_co_u32_e32 v12, vcc, v4, v103, vcc
	v_lshlrev_b64 v[4:5], 4, v[100:101]
	v_add_co_u32_e32 v8, vcc, v11, v4
	v_addc_co_u32_e32 v9, vcc, v12, v5, vcc
	ds_read_b128 v[4:7], v10 offset:1360
	s_waitcnt lgkmcnt(1)
	global_store_dwordx4 v[8:9], v[0:3], off
	s_nop 0
	v_add_u32_e32 v0, 0x55, v100
	v_mov_b32_e32 v1, v101
	v_lshlrev_b64 v[0:1], 4, v[0:1]
	v_add_co_u32_e32 v0, vcc, v11, v0
	v_addc_co_u32_e32 v1, vcc, v12, v1, vcc
	s_waitcnt lgkmcnt(0)
	global_store_dwordx4 v[0:1], v[4:7], off
	ds_read_b128 v[0:3], v10 offset:2720
	v_add_u32_e32 v4, 0xaa, v100
	v_mov_b32_e32 v5, v101
	v_lshlrev_b64 v[4:5], 4, v[4:5]
	v_add_co_u32_e32 v8, vcc, v11, v4
	v_addc_co_u32_e32 v9, vcc, v12, v5, vcc
	ds_read_b128 v[4:7], v10 offset:4080
	s_waitcnt lgkmcnt(1)
	global_store_dwordx4 v[8:9], v[0:3], off
	s_nop 0
	v_add_u32_e32 v0, 0xff, v100
	v_mov_b32_e32 v1, v101
	v_lshlrev_b64 v[0:1], 4, v[0:1]
	v_add_co_u32_e32 v0, vcc, v11, v0
	v_addc_co_u32_e32 v1, vcc, v12, v1, vcc
	s_waitcnt lgkmcnt(0)
	global_store_dwordx4 v[0:1], v[4:7], off
	ds_read_b128 v[0:3], v10 offset:5440
	v_add_u32_e32 v4, 0x154, v100
	v_mov_b32_e32 v5, v101
	;; [unrolled: 17-line block ×6, first 2 shown]
	v_lshlrev_b64 v[4:5], 4, v[4:5]
	v_add_u32_e32 v100, 0x451, v100
	v_add_co_u32_e32 v8, vcc, v11, v4
	v_addc_co_u32_e32 v9, vcc, v12, v5, vcc
	ds_read_b128 v[4:7], v10 offset:17680
	s_waitcnt lgkmcnt(1)
	global_store_dwordx4 v[8:9], v[0:3], off
	s_nop 0
	v_lshlrev_b64 v[0:1], 4, v[100:101]
	v_add_co_u32_e32 v0, vcc, v11, v0
	v_addc_co_u32_e32 v1, vcc, v12, v1, vcc
	s_waitcnt lgkmcnt(0)
	global_store_dwordx4 v[0:1], v[4:7], off
.LBB0_24:
	s_endpgm
	.section	.rodata,"a",@progbits
	.p2align	6, 0x0
	.amdhsa_kernel fft_rtc_fwd_len1190_factors_17_2_5_7_wgs_255_tpt_85_halfLds_dp_ip_CI_unitstride_sbrr_C2R_dirReg
		.amdhsa_group_segment_fixed_size 0
		.amdhsa_private_segment_fixed_size 0
		.amdhsa_kernarg_size 88
		.amdhsa_user_sgpr_count 6
		.amdhsa_user_sgpr_private_segment_buffer 1
		.amdhsa_user_sgpr_dispatch_ptr 0
		.amdhsa_user_sgpr_queue_ptr 0
		.amdhsa_user_sgpr_kernarg_segment_ptr 1
		.amdhsa_user_sgpr_dispatch_id 0
		.amdhsa_user_sgpr_flat_scratch_init 0
		.amdhsa_user_sgpr_private_segment_size 0
		.amdhsa_uses_dynamic_stack 0
		.amdhsa_system_sgpr_private_segment_wavefront_offset 0
		.amdhsa_system_sgpr_workgroup_id_x 1
		.amdhsa_system_sgpr_workgroup_id_y 0
		.amdhsa_system_sgpr_workgroup_id_z 0
		.amdhsa_system_sgpr_workgroup_info 0
		.amdhsa_system_vgpr_workitem_id 0
		.amdhsa_next_free_vgpr 253
		.amdhsa_next_free_sgpr 58
		.amdhsa_reserve_vcc 1
		.amdhsa_reserve_flat_scratch 0
		.amdhsa_float_round_mode_32 0
		.amdhsa_float_round_mode_16_64 0
		.amdhsa_float_denorm_mode_32 3
		.amdhsa_float_denorm_mode_16_64 3
		.amdhsa_dx10_clamp 1
		.amdhsa_ieee_mode 1
		.amdhsa_fp16_overflow 0
		.amdhsa_exception_fp_ieee_invalid_op 0
		.amdhsa_exception_fp_denorm_src 0
		.amdhsa_exception_fp_ieee_div_zero 0
		.amdhsa_exception_fp_ieee_overflow 0
		.amdhsa_exception_fp_ieee_underflow 0
		.amdhsa_exception_fp_ieee_inexact 0
		.amdhsa_exception_int_div_zero 0
	.end_amdhsa_kernel
	.text
.Lfunc_end0:
	.size	fft_rtc_fwd_len1190_factors_17_2_5_7_wgs_255_tpt_85_halfLds_dp_ip_CI_unitstride_sbrr_C2R_dirReg, .Lfunc_end0-fft_rtc_fwd_len1190_factors_17_2_5_7_wgs_255_tpt_85_halfLds_dp_ip_CI_unitstride_sbrr_C2R_dirReg
                                        ; -- End function
	.section	.AMDGPU.csdata,"",@progbits
; Kernel info:
; codeLenInByte = 15700
; NumSgprs: 62
; NumVgprs: 253
; ScratchSize: 0
; MemoryBound: 0
; FloatMode: 240
; IeeeMode: 1
; LDSByteSize: 0 bytes/workgroup (compile time only)
; SGPRBlocks: 7
; VGPRBlocks: 63
; NumSGPRsForWavesPerEU: 62
; NumVGPRsForWavesPerEU: 253
; Occupancy: 1
; WaveLimiterHint : 1
; COMPUTE_PGM_RSRC2:SCRATCH_EN: 0
; COMPUTE_PGM_RSRC2:USER_SGPR: 6
; COMPUTE_PGM_RSRC2:TRAP_HANDLER: 0
; COMPUTE_PGM_RSRC2:TGID_X_EN: 1
; COMPUTE_PGM_RSRC2:TGID_Y_EN: 0
; COMPUTE_PGM_RSRC2:TGID_Z_EN: 0
; COMPUTE_PGM_RSRC2:TIDIG_COMP_CNT: 0
	.type	__hip_cuid_4ed1c582f1df6fe3,@object ; @__hip_cuid_4ed1c582f1df6fe3
	.section	.bss,"aw",@nobits
	.globl	__hip_cuid_4ed1c582f1df6fe3
__hip_cuid_4ed1c582f1df6fe3:
	.byte	0                               ; 0x0
	.size	__hip_cuid_4ed1c582f1df6fe3, 1

	.ident	"AMD clang version 19.0.0git (https://github.com/RadeonOpenCompute/llvm-project roc-6.4.0 25133 c7fe45cf4b819c5991fe208aaa96edf142730f1d)"
	.section	".note.GNU-stack","",@progbits
	.addrsig
	.addrsig_sym __hip_cuid_4ed1c582f1df6fe3
	.amdgpu_metadata
---
amdhsa.kernels:
  - .args:
      - .actual_access:  read_only
        .address_space:  global
        .offset:         0
        .size:           8
        .value_kind:     global_buffer
      - .offset:         8
        .size:           8
        .value_kind:     by_value
      - .actual_access:  read_only
        .address_space:  global
        .offset:         16
        .size:           8
        .value_kind:     global_buffer
      - .actual_access:  read_only
        .address_space:  global
        .offset:         24
        .size:           8
        .value_kind:     global_buffer
      - .offset:         32
        .size:           8
        .value_kind:     by_value
      - .actual_access:  read_only
        .address_space:  global
        .offset:         40
        .size:           8
        .value_kind:     global_buffer
      - .actual_access:  read_only
        .address_space:  global
        .offset:         48
        .size:           8
        .value_kind:     global_buffer
      - .offset:         56
        .size:           4
        .value_kind:     by_value
      - .actual_access:  read_only
        .address_space:  global
        .offset:         64
        .size:           8
        .value_kind:     global_buffer
      - .actual_access:  read_only
        .address_space:  global
        .offset:         72
        .size:           8
        .value_kind:     global_buffer
      - .address_space:  global
        .offset:         80
        .size:           8
        .value_kind:     global_buffer
    .group_segment_fixed_size: 0
    .kernarg_segment_align: 8
    .kernarg_segment_size: 88
    .language:       OpenCL C
    .language_version:
      - 2
      - 0
    .max_flat_workgroup_size: 255
    .name:           fft_rtc_fwd_len1190_factors_17_2_5_7_wgs_255_tpt_85_halfLds_dp_ip_CI_unitstride_sbrr_C2R_dirReg
    .private_segment_fixed_size: 0
    .sgpr_count:     62
    .sgpr_spill_count: 0
    .symbol:         fft_rtc_fwd_len1190_factors_17_2_5_7_wgs_255_tpt_85_halfLds_dp_ip_CI_unitstride_sbrr_C2R_dirReg.kd
    .uniform_work_group_size: 1
    .uses_dynamic_stack: false
    .vgpr_count:     253
    .vgpr_spill_count: 0
    .wavefront_size: 64
amdhsa.target:   amdgcn-amd-amdhsa--gfx906
amdhsa.version:
  - 1
  - 2
...

	.end_amdgpu_metadata
